;; amdgpu-corpus repo=ROCm/rocFFT kind=compiled arch=gfx950 opt=O3
	.text
	.amdgcn_target "amdgcn-amd-amdhsa--gfx950"
	.amdhsa_code_object_version 6
	.protected	fft_rtc_back_len924_factors_2_2_3_7_11_wgs_44_tpt_44_halfLds_dp_ip_CI_unitstride_sbrr_R2C_dirReg ; -- Begin function fft_rtc_back_len924_factors_2_2_3_7_11_wgs_44_tpt_44_halfLds_dp_ip_CI_unitstride_sbrr_R2C_dirReg
	.globl	fft_rtc_back_len924_factors_2_2_3_7_11_wgs_44_tpt_44_halfLds_dp_ip_CI_unitstride_sbrr_R2C_dirReg
	.p2align	8
	.type	fft_rtc_back_len924_factors_2_2_3_7_11_wgs_44_tpt_44_halfLds_dp_ip_CI_unitstride_sbrr_R2C_dirReg,@function
fft_rtc_back_len924_factors_2_2_3_7_11_wgs_44_tpt_44_halfLds_dp_ip_CI_unitstride_sbrr_R2C_dirReg: ; @fft_rtc_back_len924_factors_2_2_3_7_11_wgs_44_tpt_44_halfLds_dp_ip_CI_unitstride_sbrr_R2C_dirReg
; %bb.0:
	s_load_dwordx2 s[8:9], s[0:1], 0x50
	s_load_dwordx4 s[4:7], s[0:1], 0x0
	s_load_dwordx2 s[10:11], s[0:1], 0x18
	v_mul_u32_u24_e32 v1, 0x5d2, v0
	v_add_u32_sdwa v6, s2, v1 dst_sel:DWORD dst_unused:UNUSED_PAD src0_sel:DWORD src1_sel:WORD_1
	v_mov_b32_e32 v4, 0
	s_waitcnt lgkmcnt(0)
	v_cmp_lt_u64_e64 s[2:3], s[6:7], 2
	v_mov_b32_e32 v7, v4
	s_and_b64 vcc, exec, s[2:3]
	v_mov_b64_e32 v[2:3], 0
	s_cbranch_vccnz .LBB0_8
; %bb.1:
	s_load_dwordx2 s[2:3], s[0:1], 0x10
	s_add_u32 s12, s10, 8
	s_addc_u32 s13, s11, 0
	s_mov_b64 s[14:15], 1
	v_mov_b64_e32 v[2:3], 0
	s_waitcnt lgkmcnt(0)
	s_add_u32 s16, s2, 8
	s_addc_u32 s17, s3, 0
.LBB0_2:                                ; =>This Inner Loop Header: Depth=1
	s_load_dwordx2 s[18:19], s[16:17], 0x0
                                        ; implicit-def: $vgpr8_vgpr9
	s_waitcnt lgkmcnt(0)
	v_or_b32_e32 v5, s19, v7
	v_cmp_ne_u64_e32 vcc, 0, v[4:5]
	s_and_saveexec_b64 s[2:3], vcc
	s_xor_b64 s[20:21], exec, s[2:3]
	s_cbranch_execz .LBB0_4
; %bb.3:                                ;   in Loop: Header=BB0_2 Depth=1
	v_cvt_f32_u32_e32 v1, s18
	v_cvt_f32_u32_e32 v5, s19
	s_sub_u32 s2, 0, s18
	s_subb_u32 s3, 0, s19
	v_fmac_f32_e32 v1, 0x4f800000, v5
	v_rcp_f32_e32 v1, v1
	s_nop 0
	v_mul_f32_e32 v1, 0x5f7ffffc, v1
	v_mul_f32_e32 v5, 0x2f800000, v1
	v_trunc_f32_e32 v5, v5
	v_fmac_f32_e32 v1, 0xcf800000, v5
	v_cvt_u32_f32_e32 v5, v5
	v_cvt_u32_f32_e32 v1, v1
	v_mul_lo_u32 v8, s2, v5
	v_mul_hi_u32 v10, s2, v1
	v_mul_lo_u32 v9, s3, v1
	v_add_u32_e32 v10, v10, v8
	v_mul_lo_u32 v12, s2, v1
	v_add_u32_e32 v13, v10, v9
	v_mul_hi_u32 v8, v1, v12
	v_mul_hi_u32 v11, v1, v13
	v_mul_lo_u32 v10, v1, v13
	v_mov_b32_e32 v9, v4
	v_lshl_add_u64 v[8:9], v[8:9], 0, v[10:11]
	v_mul_hi_u32 v11, v5, v12
	v_mul_lo_u32 v12, v5, v12
	v_add_co_u32_e32 v8, vcc, v8, v12
	v_mul_hi_u32 v10, v5, v13
	s_nop 0
	v_addc_co_u32_e32 v8, vcc, v9, v11, vcc
	v_mov_b32_e32 v9, v4
	s_nop 0
	v_addc_co_u32_e32 v11, vcc, 0, v10, vcc
	v_mul_lo_u32 v10, v5, v13
	v_lshl_add_u64 v[8:9], v[8:9], 0, v[10:11]
	v_add_co_u32_e32 v1, vcc, v1, v8
	v_mul_lo_u32 v10, s2, v1
	s_nop 0
	v_addc_co_u32_e32 v5, vcc, v5, v9, vcc
	v_mul_lo_u32 v8, s2, v5
	v_mul_hi_u32 v9, s2, v1
	v_add_u32_e32 v8, v9, v8
	v_mul_lo_u32 v9, s3, v1
	v_add_u32_e32 v12, v8, v9
	v_mul_hi_u32 v14, v5, v10
	v_mul_lo_u32 v15, v5, v10
	v_mul_hi_u32 v9, v1, v12
	v_mul_lo_u32 v8, v1, v12
	v_mul_hi_u32 v10, v1, v10
	v_mov_b32_e32 v11, v4
	v_lshl_add_u64 v[8:9], v[10:11], 0, v[8:9]
	v_add_co_u32_e32 v8, vcc, v8, v15
	v_mul_hi_u32 v13, v5, v12
	s_nop 0
	v_addc_co_u32_e32 v8, vcc, v9, v14, vcc
	v_mul_lo_u32 v10, v5, v12
	s_nop 0
	v_addc_co_u32_e32 v11, vcc, 0, v13, vcc
	v_mov_b32_e32 v9, v4
	v_lshl_add_u64 v[8:9], v[8:9], 0, v[10:11]
	v_add_co_u32_e32 v1, vcc, v1, v8
	v_mul_hi_u32 v10, v6, v1
	s_nop 0
	v_addc_co_u32_e32 v5, vcc, v5, v9, vcc
	v_mad_u64_u32 v[8:9], s[2:3], v6, v5, 0
	v_mov_b32_e32 v11, v4
	v_lshl_add_u64 v[8:9], v[10:11], 0, v[8:9]
	v_mad_u64_u32 v[12:13], s[2:3], v7, v1, 0
	v_add_co_u32_e32 v1, vcc, v8, v12
	v_mad_u64_u32 v[10:11], s[2:3], v7, v5, 0
	s_nop 0
	v_addc_co_u32_e32 v8, vcc, v9, v13, vcc
	v_mov_b32_e32 v9, v4
	s_nop 0
	v_addc_co_u32_e32 v11, vcc, 0, v11, vcc
	v_lshl_add_u64 v[8:9], v[8:9], 0, v[10:11]
	v_mul_lo_u32 v1, s19, v8
	v_mul_lo_u32 v5, s18, v9
	v_mad_u64_u32 v[10:11], s[2:3], s18, v8, 0
	v_add3_u32 v1, v11, v5, v1
	v_sub_u32_e32 v5, v7, v1
	v_mov_b32_e32 v11, s19
	v_sub_co_u32_e32 v14, vcc, v6, v10
	v_lshl_add_u64 v[12:13], v[8:9], 0, 1
	s_nop 0
	v_subb_co_u32_e64 v5, s[2:3], v5, v11, vcc
	v_subrev_co_u32_e64 v10, s[2:3], s18, v14
	v_subb_co_u32_e32 v1, vcc, v7, v1, vcc
	s_nop 0
	v_subbrev_co_u32_e64 v5, s[2:3], 0, v5, s[2:3]
	v_cmp_le_u32_e64 s[2:3], s19, v5
	v_cmp_le_u32_e32 vcc, s19, v1
	s_nop 0
	v_cndmask_b32_e64 v11, 0, -1, s[2:3]
	v_cmp_le_u32_e64 s[2:3], s18, v10
	s_nop 1
	v_cndmask_b32_e64 v10, 0, -1, s[2:3]
	v_cmp_eq_u32_e64 s[2:3], s19, v5
	s_nop 1
	v_cndmask_b32_e64 v5, v11, v10, s[2:3]
	v_lshl_add_u64 v[10:11], v[8:9], 0, 2
	v_cmp_ne_u32_e64 s[2:3], 0, v5
	s_nop 1
	v_cndmask_b32_e64 v5, v13, v11, s[2:3]
	v_cndmask_b32_e64 v11, 0, -1, vcc
	v_cmp_le_u32_e32 vcc, s18, v14
	s_nop 1
	v_cndmask_b32_e64 v13, 0, -1, vcc
	v_cmp_eq_u32_e32 vcc, s19, v1
	s_nop 1
	v_cndmask_b32_e32 v1, v11, v13, vcc
	v_cmp_ne_u32_e32 vcc, 0, v1
	v_cndmask_b32_e64 v1, v12, v10, s[2:3]
	s_nop 0
	v_cndmask_b32_e32 v9, v9, v5, vcc
	v_cndmask_b32_e32 v8, v8, v1, vcc
.LBB0_4:                                ;   in Loop: Header=BB0_2 Depth=1
	s_andn2_saveexec_b64 s[2:3], s[20:21]
	s_cbranch_execz .LBB0_6
; %bb.5:                                ;   in Loop: Header=BB0_2 Depth=1
	v_cvt_f32_u32_e32 v1, s18
	s_sub_i32 s20, 0, s18
	v_rcp_iflag_f32_e32 v1, v1
	s_nop 0
	v_mul_f32_e32 v1, 0x4f7ffffe, v1
	v_cvt_u32_f32_e32 v1, v1
	v_mul_lo_u32 v5, s20, v1
	v_mul_hi_u32 v5, v1, v5
	v_add_u32_e32 v1, v1, v5
	v_mul_hi_u32 v1, v6, v1
	v_mul_lo_u32 v5, v1, s18
	v_sub_u32_e32 v5, v6, v5
	v_add_u32_e32 v8, 1, v1
	v_subrev_u32_e32 v9, s18, v5
	v_cmp_le_u32_e32 vcc, s18, v5
	s_nop 1
	v_cndmask_b32_e32 v5, v5, v9, vcc
	v_cndmask_b32_e32 v1, v1, v8, vcc
	v_add_u32_e32 v8, 1, v1
	v_cmp_le_u32_e32 vcc, s18, v5
	v_mov_b32_e32 v9, v4
	s_nop 0
	v_cndmask_b32_e32 v8, v1, v8, vcc
.LBB0_6:                                ;   in Loop: Header=BB0_2 Depth=1
	s_or_b64 exec, exec, s[2:3]
	v_mad_u64_u32 v[10:11], s[2:3], v8, s18, 0
	s_load_dwordx2 s[2:3], s[12:13], 0x0
	v_mul_lo_u32 v1, v9, s18
	v_mul_lo_u32 v5, v8, s19
	v_add3_u32 v1, v11, v5, v1
	v_sub_co_u32_e32 v5, vcc, v6, v10
	s_add_u32 s14, s14, 1
	s_nop 0
	v_subb_co_u32_e32 v1, vcc, v7, v1, vcc
	s_addc_u32 s15, s15, 0
	s_waitcnt lgkmcnt(0)
	v_mul_lo_u32 v1, s2, v1
	v_mul_lo_u32 v6, s3, v5
	v_mad_u64_u32 v[2:3], s[2:3], s2, v5, v[2:3]
	s_add_u32 s12, s12, 8
	v_add3_u32 v3, v6, v3, v1
	s_addc_u32 s13, s13, 0
	v_mov_b64_e32 v[6:7], s[6:7]
	s_add_u32 s16, s16, 8
	v_cmp_ge_u64_e32 vcc, s[14:15], v[6:7]
	s_addc_u32 s17, s17, 0
	s_cbranch_vccnz .LBB0_9
; %bb.7:                                ;   in Loop: Header=BB0_2 Depth=1
	v_mov_b64_e32 v[6:7], v[8:9]
	s_branch .LBB0_2
.LBB0_8:
	v_mov_b64_e32 v[8:9], v[6:7]
.LBB0_9:
	s_lshl_b64 s[2:3], s[6:7], 3
	s_add_u32 s2, s10, s2
	s_addc_u32 s3, s11, s3
	s_load_dwordx2 s[6:7], s[2:3], 0x0
	s_load_dwordx2 s[10:11], s[0:1], 0x20
	s_mov_b32 s2, 0x5d1745e
                                        ; implicit-def: $vgpr110
                                        ; implicit-def: $vgpr108
                                        ; implicit-def: $vgpr106
                                        ; implicit-def: $vgpr104
                                        ; implicit-def: $vgpr102
                                        ; implicit-def: $vgpr100
                                        ; implicit-def: $vgpr98
                                        ; implicit-def: $vgpr96
                                        ; implicit-def: $vgpr94
	s_waitcnt lgkmcnt(0)
	v_mul_lo_u32 v1, s6, v9
	v_mul_lo_u32 v4, s7, v8
	v_mad_u64_u32 v[2:3], s[0:1], s6, v8, v[2:3]
	v_add3_u32 v3, v4, v3, v1
	v_mul_hi_u32 v1, v0, s2
	v_mul_u32_u24_e32 v1, 44, v1
	v_sub_u32_e32 v88, v0, v1
	v_cmp_gt_u64_e64 s[0:1], s[10:11], v[8:9]
	v_cmp_le_u64_e32 vcc, s[10:11], v[8:9]
	v_add_u32_e32 v92, 44, v88
	s_and_saveexec_b64 s[2:3], vcc
	s_xor_b64 s[2:3], exec, s[2:3]
; %bb.10:
	v_add_u32_e32 v92, 44, v88
	v_add_u32_e32 v110, 0x58, v88
	;; [unrolled: 1-line block ×10, first 2 shown]
; %bb.11:
	s_or_saveexec_b64 s[2:3], s[2:3]
	v_lshl_add_u64 v[90:91], v[2:3], 4, s[8:9]
	s_xor_b64 exec, exec, s[2:3]
	s_cbranch_execz .LBB0_13
; %bb.12:
	v_mov_b32_e32 v89, 0
	v_lshl_add_u64 v[40:41], v[88:89], 4, v[90:91]
	s_movk_i32 s6, 0x1000
	v_add_co_u32_e32 v84, vcc, s6, v40
	s_movk_i32 s6, 0x2000
	s_nop 0
	v_addc_co_u32_e32 v85, vcc, 0, v41, vcc
	v_add_co_u32_e32 v86, vcc, s6, v40
	v_or_b32_e32 v32, 0x2c0, v88
	s_nop 0
	v_addc_co_u32_e32 v87, vcc, 0, v41, vcc
	v_mov_b32_e32 v33, v89
	v_add_co_u32_e32 v96, vcc, 0x3000, v40
	global_load_dwordx4 v[0:3], v[40:41], off
	global_load_dwordx4 v[4:7], v[40:41], off offset:704
	global_load_dwordx4 v[8:11], v[40:41], off offset:1408
	;; [unrolled: 1-line block ×7, first 2 shown]
	v_lshl_add_u64 v[94:95], v[32:33], 4, v[90:91]
	global_load_dwordx4 v[32:35], v[84:85], off offset:1536
	global_load_dwordx4 v[36:39], v[84:85], off offset:2240
	v_addc_co_u32_e32 v97, vcc, 0, v41, vcc
	global_load_dwordx4 v[40:43], v[84:85], off offset:2944
	global_load_dwordx4 v[44:47], v[84:85], off offset:3648
	global_load_dwordx4 v[48:51], v[86:87], off offset:256
	global_load_dwordx4 v[52:55], v[86:87], off offset:960
	global_load_dwordx4 v[56:59], v[86:87], off offset:1664
	global_load_dwordx4 v[60:63], v[86:87], off offset:2368
	global_load_dwordx4 v[64:67], v[94:95], off
	global_load_dwordx4 v[68:71], v[86:87], off offset:3776
	global_load_dwordx4 v[72:75], v[96:97], off offset:384
	;; [unrolled: 1-line block ×4, first 2 shown]
	v_lshl_add_u32 v84, v88, 4, 0
	v_add_u32_e32 v110, 0x58, v88
	v_add_u32_e32 v108, 0x84, v88
	;; [unrolled: 1-line block ×9, first 2 shown]
	s_waitcnt vmcnt(20)
	ds_write_b128 v84, v[0:3]
	s_waitcnt vmcnt(19)
	ds_write_b128 v84, v[4:7] offset:704
	s_waitcnt vmcnt(18)
	ds_write_b128 v84, v[8:11] offset:1408
	;; [unrolled: 2-line block ×20, first 2 shown]
.LBB0_13:
	s_or_b64 exec, exec, s[2:3]
	v_lshlrev_b32_e32 v89, 4, v88
	v_add_u32_e32 v138, 0, v89
	s_waitcnt lgkmcnt(0)
	; wave barrier
	s_waitcnt lgkmcnt(0)
	ds_read_b128 v[20:23], v138 offset:7392
	ds_read_b128 v[24:27], v138
	ds_read_b128 v[0:3], v138 offset:704
	ds_read_b128 v[8:11], v138 offset:8096
	;; [unrolled: 1-line block ×6, first 2 shown]
	s_waitcnt lgkmcnt(6)
	v_add_f64 v[20:21], v[24:25], -v[20:21]
	v_add_f64 v[22:23], v[26:27], -v[22:23]
	v_fma_f64 v[24:25], v[24:25], 2.0, -v[20:21]
	v_fma_f64 v[26:27], v[26:27], 2.0, -v[22:23]
	v_add_u32_e32 v93, v138, v89
	s_waitcnt lgkmcnt(4)
	v_add_f64 v[8:9], v[0:1], -v[8:9]
	v_add_f64 v[10:11], v[2:3], -v[10:11]
	ds_read_b128 v[28:31], v138 offset:9504
	ds_read_b128 v[36:39], v138 offset:10208
	;; [unrolled: 1-line block ×14, first 2 shown]
	s_waitcnt lgkmcnt(0)
	; wave barrier
	s_waitcnt lgkmcnt(0)
	ds_write_b128 v93, v[24:27]
	ds_write_b128 v93, v[20:23] offset:16
	v_fma_f64 v[0:1], v[0:1], 2.0, -v[8:9]
	v_fma_f64 v[2:3], v[2:3], 2.0, -v[10:11]
	v_lshl_add_u32 v20, v92, 5, 0
	ds_write_b128 v20, v[0:3]
	ds_write_b128 v20, v[8:11] offset:16
	v_add_f64 v[0:1], v[12:13], -v[16:17]
	v_add_f64 v[2:3], v[14:15], -v[18:19]
	v_fma_f64 v[8:9], v[12:13], 2.0, -v[0:1]
	v_fma_f64 v[10:11], v[14:15], 2.0, -v[2:3]
	v_lshl_add_u32 v12, v110, 5, 0
	ds_write_b128 v12, v[8:11]
	ds_write_b128 v12, v[0:3] offset:16
	v_add_f64 v[0:1], v[4:5], -v[28:29]
	v_add_f64 v[2:3], v[6:7], -v[30:31]
	;; [unrolled: 7-line block ×4, first 2 shown]
	v_fma_f64 v[8:9], v[44:45], 2.0, -v[0:1]
	v_fma_f64 v[10:11], v[46:47], 2.0, -v[2:3]
	v_add_f64 v[12:13], v[56:57], -v[52:53]
	v_add_f64 v[14:15], v[58:59], -v[54:55]
	v_add_f64 v[20:21], v[60:61], -v[64:65]
	v_add_f64 v[22:23], v[62:63], -v[66:67]
	v_add_f64 v[36:37], v[72:73], -v[68:69]
	v_add_f64 v[38:39], v[74:75], -v[70:71]
	v_add_f64 v[44:45], v[76:77], -v[80:81]
	v_add_f64 v[46:47], v[78:79], -v[82:83]
	v_add_f64 v[28:29], v[32:33], -v[84:85]
	v_add_f64 v[30:31], v[34:35], -v[86:87]
	v_fma_f64 v[16:17], v[56:57], 2.0, -v[12:13]
	v_fma_f64 v[18:19], v[58:59], 2.0, -v[14:15]
	;; [unrolled: 1-line block ×10, first 2 shown]
	v_lshl_add_u32 v109, v104, 5, 0
	v_lshl_add_u32 v111, v102, 5, 0
	;; [unrolled: 1-line block ×5, first 2 shown]
	v_cmp_gt_u32_e32 vcc, 22, v88
	ds_write_b128 v109, v[8:11]
	ds_write_b128 v109, v[0:3] offset:16
	ds_write_b128 v111, v[16:19]
	ds_write_b128 v111, v[12:15] offset:16
	;; [unrolled: 2-line block ×5, first 2 shown]
	s_and_saveexec_b64 s[2:3], vcc
	s_cbranch_execz .LBB0_15
; %bb.14:
	v_lshl_add_u32 v0, v94, 5, 0
	ds_write_b128 v0, v[4:7]
	ds_write_b128 v0, v[28:31] offset:16
.LBB0_15:
	s_or_b64 exec, exec, s[2:3]
	v_lshlrev_b32_e32 v107, 4, v104
	v_lshl_add_u32 v101, v110, 4, 0
	v_lshl_add_u32 v97, v106, 4, 0
	v_sub_u32_e32 v16, v109, v107
	v_lshlrev_b32_e32 v122, 4, v102
	v_lshlrev_b32_e32 v124, 4, v100
	s_waitcnt lgkmcnt(0)
	; wave barrier
	s_waitcnt lgkmcnt(0)
	ds_read_b128 v[0:3], v138
	ds_read_b128 v[84:87], v138 offset:7392
	ds_read_b128 v[80:83], v138 offset:8096
	;; [unrolled: 1-line block ×3, first 2 shown]
	v_lshl_add_u32 v99, v108, 4, 0
	ds_read_b128 v[12:15], v101
	ds_read_b128 v[8:11], v99
	ds_read_b128 v[72:75], v138 offset:9504
	ds_read_b128 v[68:71], v138 offset:10208
	ds_read_b128 v[24:27], v97
	ds_read_b128 v[20:23], v16
	v_sub_u32_e32 v16, v111, v122
	v_sub_u32_e32 v17, v112, v124
	v_lshlrev_b32_e32 v93, 4, v98
	v_lshlrev_b32_e32 v126, 4, v96
	ds_read_b128 v[64:67], v138 offset:10912
	ds_read_b128 v[60:63], v138 offset:11616
	ds_read_b128 v[36:39], v16
	ds_read_b128 v[32:35], v17
	v_sub_u32_e32 v16, v95, v93
	v_sub_u32_e32 v17, v105, v126
	v_lshl_add_u32 v103, v92, 4, 0
	ds_read_b128 v[56:59], v138 offset:12320
	ds_read_b128 v[52:55], v138 offset:13024
	ds_read_b128 v[40:43], v16
	ds_read_b128 v[16:19], v17
	;; [unrolled: 1-line block ×3, first 2 shown]
	ds_read_b128 v[48:51], v138 offset:13728
	v_lshlrev_b32_e32 v121, 1, v92
	v_lshlrev_b32_e32 v120, 1, v110
	;; [unrolled: 1-line block ×9, first 2 shown]
	v_lshl_add_u32 v139, v94, 4, 0
	s_and_saveexec_b64 s[2:3], vcc
	s_cbranch_execz .LBB0_17
; %bb.16:
	ds_read_b128 v[4:7], v139
	ds_read_b128 v[28:31], v138 offset:14432
.LBB0_17:
	s_or_b64 exec, exec, s[2:3]
	v_and_b32_e32 v125, 1, v88
	v_lshlrev_b32_e32 v123, 4, v125
	global_load_dwordx4 v[128:131], v123, s[4:5]
	v_sub_u32_e32 v123, 0, v107
	v_sub_u32_e32 v107, 0, v126
	v_lshlrev_b32_e32 v150, 1, v88
	s_movk_i32 s2, 0x7c
	s_waitcnt lgkmcnt(0)
	; wave barrier
	s_waitcnt lgkmcnt(0)
	s_movk_i32 s6, 0x3fc
	v_sub_u32_e32 v122, 0, v122
	v_sub_u32_e32 v124, 0, v124
	s_waitcnt vmcnt(0)
	v_mul_f64 v[126:127], v[86:87], v[130:131]
	v_mul_f64 v[132:133], v[84:85], v[130:131]
	;; [unrolled: 1-line block ×4, first 2 shown]
	v_fmac_f64_e32 v[126:127], v[84:85], v[128:129]
	v_fma_f64 v[84:85], v[86:87], v[128:129], -v[132:133]
	v_mul_f64 v[86:87], v[78:79], v[130:131]
	v_mul_f64 v[132:133], v[76:77], v[130:131]
	v_fmac_f64_e32 v[134:135], v[80:81], v[128:129]
	v_fma_f64 v[80:81], v[82:83], v[128:129], -v[136:137]
	v_mul_f64 v[82:83], v[74:75], v[130:131]
	v_mul_f64 v[136:137], v[72:73], v[130:131]
	;; [unrolled: 4-line block ×4, first 2 shown]
	v_fmac_f64_e32 v[78:79], v[68:69], v[128:129]
	v_fma_f64 v[68:69], v[70:71], v[128:129], -v[132:133]
	v_mul_f64 v[70:71], v[62:63], v[130:131]
	v_fma_f64 v[66:67], v[66:67], v[128:129], -v[136:137]
	v_mul_f64 v[136:137], v[58:59], v[130:131]
	v_mul_f64 v[140:141], v[54:55], v[130:131]
	;; [unrolled: 1-line block ×3, first 2 shown]
	v_fmac_f64_e32 v[74:75], v[64:65], v[128:129]
	v_mul_f64 v[64:65], v[56:57], v[130:131]
	v_fmac_f64_e32 v[70:71], v[60:61], v[128:129]
	v_mul_f64 v[60:61], v[52:53], v[130:131]
	;; [unrolled: 2-line block ×3, first 2 shown]
	v_mul_f64 v[56:57], v[48:49], v[130:131]
	v_fmac_f64_e32 v[140:141], v[52:53], v[128:129]
	v_mul_f64 v[148:149], v[30:31], v[130:131]
	v_mul_f64 v[52:53], v[28:29], v[130:131]
	v_fma_f64 v[132:133], v[62:63], v[128:129], -v[132:133]
	v_fma_f64 v[142:143], v[58:59], v[128:129], -v[64:65]
	;; [unrolled: 1-line block ×3, first 2 shown]
	v_fmac_f64_e32 v[144:145], v[48:49], v[128:129]
	v_fma_f64 v[130:131], v[50:51], v[128:129], -v[56:57]
	v_fmac_f64_e32 v[148:149], v[28:29], v[128:129]
	v_fma_f64 v[128:129], v[30:31], v[128:129], -v[52:53]
	v_add_f64 v[28:29], v[0:1], -v[126:127]
	v_add_f64 v[30:31], v[2:3], -v[84:85]
	v_and_or_b32 v126, v150, s2, v125
	v_add_f64 v[50:51], v[46:47], -v[80:81]
	v_add_f64 v[56:57], v[8:9], -v[82:83]
	v_fma_f64 v[80:81], v[0:1], 2.0, -v[28:29]
	v_fma_f64 v[82:83], v[2:3], 2.0, -v[30:31]
	v_lshl_add_u32 v126, v126, 4, 0
	s_movk_i32 s2, 0xfc
	v_add_f64 v[48:49], v[44:45], -v[134:135]
	ds_write_b128 v126, v[80:83]
	ds_write_b128 v126, v[28:31] offset:32
	v_and_or_b32 v28, v121, s2, v125
	v_fma_f64 v[44:45], v[44:45], 2.0, -v[48:49]
	v_fma_f64 v[46:47], v[46:47], 2.0, -v[50:51]
	v_lshl_add_u32 v28, v28, 4, 0
	s_movk_i32 s2, 0x1fc
	v_add_f64 v[52:53], v[12:13], -v[86:87]
	v_add_f64 v[54:55], v[14:15], -v[76:77]
	ds_write_b128 v28, v[44:47]
	ds_write_b128 v28, v[48:51] offset:32
	v_and_or_b32 v28, v120, s2, v125
	v_fma_f64 v[12:13], v[12:13], 2.0, -v[52:53]
	v_fma_f64 v[14:15], v[14:15], 2.0, -v[54:55]
	v_lshl_add_u32 v28, v28, 4, 0
	v_add_f64 v[58:59], v[10:11], -v[72:73]
	ds_write_b128 v28, v[12:15]
	ds_write_b128 v28, v[52:55] offset:32
	v_and_or_b32 v12, v118, s2, v125
	v_fma_f64 v[8:9], v[8:9], 2.0, -v[56:57]
	v_fma_f64 v[10:11], v[10:11], 2.0, -v[58:59]
	v_lshl_add_u32 v12, v12, 4, 0
	v_add_f64 v[60:61], v[24:25], -v[78:79]
	v_add_f64 v[62:63], v[26:27], -v[68:69]
	ds_write_b128 v12, v[8:11]
	ds_write_b128 v12, v[56:59] offset:32
	v_and_or_b32 v8, v116, s2, v125
	v_fma_f64 v[24:25], v[24:25], 2.0, -v[60:61]
	v_fma_f64 v[26:27], v[26:27], 2.0, -v[62:63]
	v_lshl_add_u32 v8, v8, 4, 0
	v_add_f64 v[64:65], v[20:21], -v[74:75]
	v_add_f64 v[66:67], v[22:23], -v[66:67]
	ds_write_b128 v8, v[24:27]
	ds_write_b128 v8, v[60:63] offset:32
	v_and_or_b32 v8, v114, s6, v125
	v_fma_f64 v[20:21], v[20:21], 2.0, -v[64:65]
	v_fma_f64 v[22:23], v[22:23], 2.0, -v[66:67]
	v_lshl_add_u32 v8, v8, 4, 0
	s_movk_i32 s2, 0x2fc
	v_add_f64 v[68:69], v[36:37], -v[70:71]
	v_add_f64 v[70:71], v[38:39], -v[132:133]
	ds_write_b128 v8, v[20:23]
	ds_write_b128 v8, v[64:67] offset:32
	v_and_or_b32 v8, v113, s2, v125
	v_fma_f64 v[36:37], v[36:37], 2.0, -v[68:69]
	v_fma_f64 v[38:39], v[38:39], 2.0, -v[70:71]
	v_lshl_add_u32 v8, v8, 4, 0
	v_add_f64 v[72:73], v[32:33], -v[136:137]
	v_add_f64 v[74:75], v[34:35], -v[142:143]
	ds_write_b128 v8, v[36:39]
	ds_write_b128 v8, v[68:71] offset:32
	v_and_or_b32 v8, v119, s2, v125
	v_fma_f64 v[32:33], v[32:33], 2.0, -v[72:73]
	v_fma_f64 v[34:35], v[34:35], 2.0, -v[74:75]
	v_lshl_add_u32 v8, v8, 4, 0
	;; [unrolled: 8-line block ×3, first 2 shown]
	v_add_f64 v[84:85], v[16:17], -v[144:145]
	v_add_f64 v[86:87], v[18:19], -v[130:131]
	ds_write_b128 v8, v[40:43]
	ds_write_b128 v8, v[76:79] offset:32
	v_and_or_b32 v8, v115, s6, v125
	v_fma_f64 v[16:17], v[16:17], 2.0, -v[84:85]
	v_fma_f64 v[18:19], v[18:19], 2.0, -v[86:87]
	v_add_f64 v[0:1], v[4:5], -v[148:149]
	v_add_f64 v[2:3], v[6:7], -v[128:129]
	v_lshl_add_u32 v8, v8, 4, 0
	ds_write_b128 v8, v[16:19]
	ds_write_b128 v8, v[84:87] offset:32
	s_and_saveexec_b64 s[2:3], vcc
	s_cbranch_execz .LBB0_19
; %bb.18:
	v_lshlrev_b32_e32 v8, 1, v94
	v_and_or_b32 v8, v8, s6, v125
	v_lshl_add_u32 v8, v8, 4, 0
	v_fma_f64 v[6:7], v[6:7], 2.0, -v[2:3]
	v_fma_f64 v[4:5], v[4:5], 2.0, -v[0:1]
	ds_write_b128 v8, v[4:7]
	ds_write_b128 v8, v[0:3] offset:32
.LBB0_19:
	s_or_b64 exec, exec, s[2:3]
	v_add_u32_e32 v142, v109, v123
	v_and_b32_e32 v109, 3, v88
	v_add_u32_e32 v140, v112, v124
	v_add_u32_e32 v141, v111, v122
	v_lshlrev_b32_e32 v111, 5, v109
	s_waitcnt lgkmcnt(0)
	; wave barrier
	s_waitcnt lgkmcnt(0)
	ds_read_b128 v[28:31], v138
	ds_read_b128 v[84:87], v140
	ds_read_b128 v[80:83], v138 offset:9856
	ds_read_b128 v[24:27], v103
	ds_read_b128 v[76:79], v138 offset:5632
	ds_read_b128 v[72:75], v138 offset:10560
	ds_read_b128 v[20:23], v101
	ds_read_b128 v[68:71], v138 offset:6336
	;; [unrolled: 3-line block ×6, first 2 shown]
	ds_read_b128 v[32:35], v138 offset:14080
	global_load_dwordx4 v[112:115], v111, s[4:5] offset:48
	global_load_dwordx4 v[116:119], v111, s[4:5] offset:32
	s_mov_b32 s2, 0xe8584caa
	s_mov_b32 s3, 0xbfebb67a
	;; [unrolled: 1-line block ×4, first 2 shown]
	s_waitcnt lgkmcnt(0)
	; wave barrier
	s_waitcnt lgkmcnt(0)
	v_add_u32_e32 v143, v105, v107
	s_mov_b32 s10, 0xe976ee23
	s_mov_b32 s12, 0xaaaaaaaa
	;; [unrolled: 1-line block ×16, first 2 shown]
	s_waitcnt vmcnt(1)
	v_mul_f64 v[146:147], v[42:43], v[114:115]
	s_waitcnt vmcnt(0)
	v_mul_f64 v[120:121], v[86:87], v[118:119]
	v_fmac_f64_e32 v[120:121], v[84:85], v[116:117]
	v_mul_f64 v[84:85], v[84:85], v[118:119]
	v_fma_f64 v[84:85], v[86:87], v[116:117], -v[84:85]
	v_mul_f64 v[86:87], v[82:83], v[114:115]
	v_fmac_f64_e32 v[86:87], v[80:81], v[112:113]
	v_mul_f64 v[80:81], v[80:81], v[114:115]
	v_fma_f64 v[80:81], v[82:83], v[112:113], -v[80:81]
	v_mul_f64 v[82:83], v[78:79], v[118:119]
	v_fmac_f64_e32 v[146:147], v[40:41], v[112:113]
	v_mul_f64 v[40:41], v[40:41], v[114:115]
	v_fmac_f64_e32 v[82:83], v[76:77], v[116:117]
	v_mul_f64 v[76:77], v[76:77], v[118:119]
	v_fma_f64 v[148:149], v[42:43], v[112:113], -v[40:41]
	v_mul_f64 v[40:41], v[38:39], v[118:119]
	v_fma_f64 v[76:77], v[78:79], v[116:117], -v[76:77]
	v_mul_f64 v[78:79], v[74:75], v[114:115]
	v_mul_f64 v[134:135], v[50:51], v[114:115]
	v_fmac_f64_e32 v[40:41], v[36:37], v[116:117]
	v_mul_f64 v[36:37], v[36:37], v[118:119]
	v_fmac_f64_e32 v[78:79], v[72:73], v[112:113]
	v_mul_f64 v[72:73], v[72:73], v[114:115]
	v_fmac_f64_e32 v[134:135], v[48:49], v[112:113]
	v_mul_f64 v[48:49], v[48:49], v[114:115]
	v_fma_f64 v[36:37], v[38:39], v[116:117], -v[36:37]
	v_mul_f64 v[38:39], v[34:35], v[114:115]
	v_fma_f64 v[72:73], v[74:75], v[112:113], -v[72:73]
	v_mul_f64 v[74:75], v[70:71], v[118:119]
	v_mul_f64 v[122:123], v[62:63], v[118:119]
	;; [unrolled: 1-line block ×3, first 2 shown]
	v_fma_f64 v[136:137], v[50:51], v[112:113], -v[48:49]
	v_mul_f64 v[48:49], v[46:47], v[118:119]
	v_fmac_f64_e32 v[38:39], v[32:33], v[112:113]
	v_mul_f64 v[32:33], v[32:33], v[114:115]
	v_fmac_f64_e32 v[74:75], v[68:69], v[116:117]
	;; [unrolled: 2-line block ×5, first 2 shown]
	v_mul_f64 v[44:45], v[44:45], v[118:119]
	v_fma_f64 v[118:119], v[34:35], v[112:113], -v[32:33]
	v_add_f64 v[34:35], v[120:121], v[86:87]
	v_fma_f64 v[144:145], v[46:47], v[116:117], -v[44:45]
	v_add_f64 v[32:33], v[28:29], v[120:121]
	v_fmac_f64_e32 v[28:29], -0.5, v[34:35]
	v_add_f64 v[34:35], v[84:85], -v[80:81]
	v_add_f64 v[44:45], v[84:85], v[80:81]
	v_fma_f64 v[42:43], s[2:3], v[34:35], v[28:29]
	v_fmac_f64_e32 v[28:29], s[6:7], v[34:35]
	v_add_f64 v[34:35], v[30:31], v[84:85]
	v_fmac_f64_e32 v[30:31], -0.5, v[44:45]
	v_add_f64 v[46:47], v[120:121], -v[86:87]
	v_fma_f64 v[44:45], s[6:7], v[46:47], v[30:31]
	v_fmac_f64_e32 v[30:31], s[2:3], v[46:47]
	v_add_f64 v[46:47], v[24:25], v[82:83]
	v_add_f64 v[50:51], v[46:47], v[78:79]
	v_add_f64 v[46:47], v[82:83], v[78:79]
	v_fmac_f64_e32 v[24:25], -0.5, v[46:47]
	v_add_f64 v[46:47], v[76:77], -v[72:73]
	v_fma_f64 v[132:133], v[54:55], v[116:117], -v[52:53]
	v_fma_f64 v[54:55], s[2:3], v[46:47], v[24:25]
	v_fmac_f64_e32 v[24:25], s[6:7], v[46:47]
	v_add_f64 v[46:47], v[26:27], v[76:77]
	v_mul_f64 v[126:127], v[58:59], v[114:115]
	v_add_f64 v[52:53], v[46:47], v[72:73]
	v_add_f64 v[46:47], v[76:77], v[72:73]
	v_fma_f64 v[68:69], v[70:71], v[116:117], -v[68:69]
	v_mul_f64 v[70:71], v[66:67], v[114:115]
	v_fmac_f64_e32 v[126:127], v[56:57], v[112:113]
	v_mul_f64 v[56:57], v[56:57], v[114:115]
	v_fmac_f64_e32 v[26:27], -0.5, v[46:47]
	v_add_f64 v[46:47], v[82:83], -v[78:79]
	v_fmac_f64_e32 v[70:71], v[64:65], v[112:113]
	v_mul_f64 v[64:65], v[64:65], v[114:115]
	v_fma_f64 v[128:129], v[58:59], v[112:113], -v[56:57]
	v_fma_f64 v[56:57], s[6:7], v[46:47], v[26:27]
	v_fmac_f64_e32 v[26:27], s[2:3], v[46:47]
	v_add_f64 v[46:47], v[20:21], v[74:75]
	v_fma_f64 v[64:65], v[66:67], v[112:113], -v[64:65]
	v_add_f64 v[58:59], v[46:47], v[70:71]
	v_add_f64 v[46:47], v[74:75], v[70:71]
	v_fmac_f64_e32 v[20:21], -0.5, v[46:47]
	v_add_f64 v[46:47], v[68:69], -v[64:65]
	v_fma_f64 v[124:125], v[62:63], v[116:117], -v[60:61]
	v_fma_f64 v[62:63], s[2:3], v[46:47], v[20:21]
	v_fmac_f64_e32 v[20:21], s[6:7], v[46:47]
	v_add_f64 v[46:47], v[22:23], v[68:69]
	v_add_f64 v[60:61], v[46:47], v[64:65]
	v_add_f64 v[46:47], v[68:69], v[64:65]
	v_fmac_f64_e32 v[22:23], -0.5, v[46:47]
	v_add_f64 v[46:47], v[74:75], -v[70:71]
	v_fma_f64 v[64:65], s[6:7], v[46:47], v[22:23]
	v_fmac_f64_e32 v[22:23], s[2:3], v[46:47]
	v_add_f64 v[46:47], v[16:17], v[122:123]
	v_add_f64 v[66:67], v[46:47], v[126:127]
	v_add_f64 v[46:47], v[122:123], v[126:127]
	v_fmac_f64_e32 v[16:17], -0.5, v[46:47]
	v_add_f64 v[46:47], v[124:125], -v[128:129]
	;; [unrolled: 7-line block ×5, first 2 shown]
	v_add_f64 v[34:35], v[34:35], v[80:81]
	v_fma_f64 v[80:81], s[6:7], v[46:47], v[14:15]
	v_fmac_f64_e32 v[14:15], s[2:3], v[46:47]
	v_add_f64 v[46:47], v[8:9], v[48:49]
	v_add_f64 v[82:83], v[46:47], v[146:147]
	;; [unrolled: 1-line block ×4, first 2 shown]
	v_fmac_f64_e32 v[8:9], -0.5, v[46:47]
	v_add_f64 v[84:85], v[144:145], -v[148:149]
	v_add_f64 v[86:87], v[144:145], v[148:149]
	v_fma_f64 v[46:47], s[2:3], v[84:85], v[8:9]
	v_fmac_f64_e32 v[8:9], s[6:7], v[84:85]
	v_add_f64 v[84:85], v[10:11], v[144:145]
	v_fmac_f64_e32 v[10:11], -0.5, v[86:87]
	v_add_f64 v[86:87], v[48:49], -v[146:147]
	v_fma_f64 v[48:49], s[6:7], v[86:87], v[10:11]
	v_fmac_f64_e32 v[10:11], s[2:3], v[86:87]
	v_add_f64 v[86:87], v[4:5], v[40:41]
	v_add_f64 v[112:113], v[86:87], v[38:39]
	;; [unrolled: 1-line block ×3, first 2 shown]
	v_fmac_f64_e32 v[4:5], -0.5, v[86:87]
	v_add_f64 v[86:87], v[36:37], -v[118:119]
	v_fma_f64 v[116:117], s[2:3], v[86:87], v[4:5]
	v_fmac_f64_e32 v[4:5], s[6:7], v[86:87]
	v_add_f64 v[86:87], v[6:7], v[36:37]
	v_add_f64 v[36:37], v[36:37], v[118:119]
	v_fmac_f64_e32 v[6:7], -0.5, v[36:37]
	v_add_f64 v[36:37], v[40:41], -v[38:39]
	v_add_f64 v[114:115], v[86:87], v[118:119]
	v_fma_f64 v[118:119], s[6:7], v[36:37], v[6:7]
	v_fmac_f64_e32 v[6:7], s[2:3], v[36:37]
	v_lshrrev_b32_e32 v36, 2, v88
	v_mul_u32_u24_e32 v36, 12, v36
	v_or_b32_e32 v36, v36, v109
	v_lshl_add_u32 v36, v36, 4, 0
	ds_write_b128 v36, v[32:35]
	ds_write_b128 v36, v[42:45] offset:64
	ds_write_b128 v36, v[28:31] offset:128
	v_lshrrev_b32_e32 v28, 2, v92
	v_mul_lo_u32 v28, v28, 12
	v_or_b32_e32 v28, v28, v109
	v_lshl_add_u32 v28, v28, 4, 0
	ds_write_b128 v28, v[50:53]
	ds_write_b128 v28, v[54:57] offset:64
	ds_write_b128 v28, v[24:27] offset:128
	v_lshrrev_b32_e32 v24, 2, v110
	v_mul_lo_u32 v24, v24, 12
	;; [unrolled: 7-line block ×5, first 2 shown]
	s_movk_i32 s2, 0xab
	v_or_b32_e32 v12, v12, v109
	v_mul_lo_u16_sdwa v105, v88, s2 dst_sel:DWORD dst_unused:UNUSED_PAD src0_sel:BYTE_0 src1_sel:DWORD
	v_add_f64 v[84:85], v[84:85], v[148:149]
	v_lshl_add_u32 v12, v12, 4, 0
	v_lshrrev_b16_e32 v105, 11, v105
	ds_write_b128 v12, v[82:85]
	ds_write_b128 v12, v[46:49] offset:64
	ds_write_b128 v12, v[8:11] offset:128
	v_lshrrev_b32_e32 v8, 2, v102
	v_mul_lo_u16_e32 v107, 12, v105
	v_mul_lo_u32 v8, v8, 12
	v_sub_u16_e32 v107, v88, v107
	v_mov_b32_e32 v136, 6
	v_or_b32_e32 v8, v8, v109
	v_mul_u32_u24_sdwa v109, v107, v136 dst_sel:DWORD dst_unused:UNUSED_PAD src0_sel:BYTE_0 src1_sel:DWORD
	v_lshl_add_u32 v8, v8, 4, 0
	v_lshlrev_b32_e32 v109, 4, v109
	ds_write_b128 v8, v[112:115]
	ds_write_b128 v8, v[116:119] offset:64
	ds_write_b128 v8, v[4:7] offset:128
	s_waitcnt lgkmcnt(0)
	; wave barrier
	s_waitcnt lgkmcnt(0)
	ds_read_b128 v[8:11], v138
	ds_read_b128 v[84:87], v99
	;; [unrolled: 1-line block ×4, first 2 shown]
	ds_read_b128 v[72:75], v138 offset:8448
	ds_read_b128 v[68:71], v138 offset:10560
	;; [unrolled: 1-line block ×3, first 2 shown]
	ds_read_b128 v[4:7], v103
	ds_read_b128 v[60:63], v138 offset:2816
	ds_read_b128 v[56:59], v138 offset:4928
	;; [unrolled: 1-line block ×6, first 2 shown]
	ds_read_b128 v[16:19], v101
	ds_read_b128 v[36:39], v138 offset:3520
	ds_read_b128 v[32:35], v138 offset:5632
	;; [unrolled: 1-line block ×6, first 2 shown]
	global_load_dwordx4 v[126:129], v109, s[4:5] offset:208
	global_load_dwordx4 v[122:125], v109, s[4:5] offset:192
	;; [unrolled: 1-line block ×4, first 2 shown]
	s_mov_b32 s6, 0x37e14327
	s_mov_b32 s7, 0x3fe948f6
	v_mul_u32_u24_e32 v105, 0x540, v105
	s_waitcnt vmcnt(0) lgkmcnt(14)
	v_mul_f64 v[112:113], v[86:87], v[116:117]
	v_fmac_f64_e32 v[112:113], v[84:85], v[114:115]
	v_mul_f64 v[84:85], v[84:85], v[116:117]
	v_mul_f64 v[116:117], v[78:79], v[124:125]
	v_fmac_f64_e32 v[116:117], v[76:77], v[122:123]
	v_mul_f64 v[76:77], v[76:77], v[124:125]
	;; [unrolled: 3-line block ×3, first 2 shown]
	v_fma_f64 v[122:123], v[78:79], v[122:123], -v[76:77]
	v_fma_f64 v[126:127], v[74:75], v[126:127], -v[72:73]
	global_load_dwordx4 v[72:75], v109, s[4:5] offset:240
	global_load_dwordx4 v[76:79], v109, s[4:5] offset:224
	v_fma_f64 v[118:119], v[86:87], v[114:115], -v[84:85]
	v_mul_f64 v[114:115], v[82:83], v[132:133]
	v_fmac_f64_e32 v[114:115], v[80:81], v[130:131]
	v_mul_f64 v[80:81], v[80:81], v[132:133]
	v_fma_f64 v[120:121], v[82:83], v[130:131], -v[80:81]
	s_waitcnt vmcnt(0)
	v_mul_f64 v[134:135], v[70:71], v[78:79]
	v_fmac_f64_e32 v[134:135], v[68:69], v[76:77]
	v_mul_f64 v[68:69], v[68:69], v[78:79]
	v_fma_f64 v[68:69], v[70:71], v[76:77], -v[68:69]
	v_mul_f64 v[70:71], v[66:67], v[74:75]
	v_fmac_f64_e32 v[70:71], v[64:65], v[72:73]
	v_mul_f64 v[64:65], v[64:65], v[74:75]
	v_fma_f64 v[64:65], v[66:67], v[72:73], -v[64:65]
	v_mul_lo_u16_sdwa v66, v92, s2 dst_sel:DWORD dst_unused:UNUSED_PAD src0_sel:BYTE_0 src1_sel:DWORD
	v_lshrrev_b16_e32 v109, 11, v66
	v_mul_lo_u16_e32 v66, 12, v109
	v_sub_u16_e32 v111, v92, v66
	v_mul_u32_u24_sdwa v66, v111, v136 dst_sel:DWORD dst_unused:UNUSED_PAD src0_sel:BYTE_0 src1_sel:DWORD
	v_lshlrev_b32_e32 v66, 4, v66
	global_load_dwordx4 v[128:131], v66, s[4:5] offset:208
	global_load_dwordx4 v[82:85], v66, s[4:5] offset:192
	;; [unrolled: 1-line block ×4, first 2 shown]
	s_waitcnt vmcnt(0) lgkmcnt(12)
	v_mul_f64 v[72:73], v[62:63], v[76:77]
	v_fmac_f64_e32 v[72:73], v[60:61], v[74:75]
	v_mul_f64 v[60:61], v[60:61], v[76:77]
	s_waitcnt lgkmcnt(10)
	v_mul_f64 v[76:77], v[54:55], v[84:85]
	v_fmac_f64_e32 v[76:77], v[52:53], v[82:83]
	v_mul_f64 v[52:53], v[52:53], v[84:85]
	s_waitcnt lgkmcnt(9)
	v_mul_f64 v[84:85], v[50:51], v[130:131]
	v_fmac_f64_e32 v[84:85], v[48:49], v[128:129]
	v_mul_f64 v[48:49], v[48:49], v[130:131]
	v_fma_f64 v[82:83], v[54:55], v[82:83], -v[52:53]
	v_fma_f64 v[86:87], v[50:51], v[128:129], -v[48:49]
	global_load_dwordx4 v[48:51], v66, s[4:5] offset:240
	global_load_dwordx4 v[52:55], v66, s[4:5] offset:224
	v_fma_f64 v[78:79], v[62:63], v[74:75], -v[60:61]
	v_mul_f64 v[74:75], v[58:59], v[146:147]
	v_fmac_f64_e32 v[74:75], v[56:57], v[144:145]
	v_mul_f64 v[56:57], v[56:57], v[146:147]
	v_fma_f64 v[80:81], v[58:59], v[144:145], -v[56:57]
	v_add_f64 v[62:63], v[126:127], -v[122:123]
	s_waitcnt vmcnt(1) lgkmcnt(7)
	v_mul_f64 v[132:133], v[42:43], v[50:51]
	v_fmac_f64_e32 v[132:133], v[40:41], v[48:49]
	v_mul_f64 v[40:41], v[40:41], v[50:51]
	v_fma_f64 v[42:43], v[42:43], v[48:49], -v[40:41]
	v_mul_lo_u16_sdwa v40, v110, s2 dst_sel:DWORD dst_unused:UNUSED_PAD src0_sel:BYTE_0 src1_sel:DWORD
	v_lshrrev_b16_e32 v144, 11, v40
	v_mul_lo_u16_e32 v40, 12, v144
	v_sub_u16_e32 v145, v110, v40
	s_waitcnt vmcnt(0)
	v_mul_f64 v[128:129], v[46:47], v[54:55]
	v_mul_u32_u24_sdwa v40, v145, v136 dst_sel:DWORD dst_unused:UNUSED_PAD src0_sel:BYTE_0 src1_sel:DWORD
	v_fmac_f64_e32 v[128:129], v[44:45], v[52:53]
	v_mul_f64 v[44:45], v[44:45], v[54:55]
	v_lshlrev_b32_e32 v60, 4, v40
	v_fma_f64 v[130:131], v[46:47], v[52:53], -v[44:45]
	global_load_dwordx4 v[44:47], v60, s[4:5] offset:208
	global_load_dwordx4 v[48:51], v60, s[4:5] offset:192
	;; [unrolled: 1-line block ×4, first 2 shown]
	s_mov_b32 s2, 0x36b3c0b5
	s_mov_b32 s3, 0x3fac98ee
	s_waitcnt vmcnt(0) lgkmcnt(5)
	v_mul_f64 v[40:41], v[38:39], v[58:59]
	v_fmac_f64_e32 v[40:41], v[36:37], v[56:57]
	v_mul_f64 v[36:37], v[36:37], v[58:59]
	v_fma_f64 v[38:39], v[38:39], v[56:57], -v[36:37]
	s_waitcnt lgkmcnt(4)
	v_mul_f64 v[36:37], v[34:35], v[54:55]
	v_fmac_f64_e32 v[36:37], v[32:33], v[52:53]
	v_mul_f64 v[32:33], v[32:33], v[54:55]
	v_fma_f64 v[34:35], v[34:35], v[52:53], -v[32:33]
	s_waitcnt lgkmcnt(3)
	;; [unrolled: 5-line block ×3, first 2 shown]
	v_mul_f64 v[30:31], v[26:27], v[46:47]
	v_fmac_f64_e32 v[30:31], v[24:25], v[44:45]
	v_mul_f64 v[24:25], v[24:25], v[46:47]
	v_fma_f64 v[24:25], v[26:27], v[44:45], -v[24:25]
	global_load_dwordx4 v[44:47], v60, s[4:5] offset:240
	global_load_dwordx4 v[48:51], v60, s[4:5] offset:224
	v_add_f64 v[52:53], v[114:115], -v[134:135]
	v_add_f64 v[56:57], v[116:117], v[124:125]
	v_add_f64 v[60:61], v[124:125], -v[116:117]
	v_add_f64 v[54:55], v[120:121], -v[68:69]
	v_add_f64 v[58:59], v[122:123], v[126:127]
	v_add_f64 v[116:117], v[60:61], -v[52:53]
	s_waitcnt lgkmcnt(0)
	; wave barrier
	s_waitcnt vmcnt(0) lgkmcnt(0)
	v_mul_f64 v[26:27], v[22:23], v[50:51]
	v_fmac_f64_e32 v[26:27], v[20:21], v[48:49]
	v_mul_f64 v[20:21], v[20:21], v[50:51]
	v_fma_f64 v[20:21], v[22:23], v[48:49], -v[20:21]
	v_mul_f64 v[22:23], v[14:15], v[46:47]
	v_fmac_f64_e32 v[22:23], v[12:13], v[44:45]
	v_mul_f64 v[12:13], v[12:13], v[46:47]
	v_fma_f64 v[136:137], v[14:15], v[44:45], -v[12:13]
	v_add_f64 v[12:13], v[112:113], v[70:71]
	v_add_f64 v[48:49], v[114:115], v[134:135]
	;; [unrolled: 1-line block ×3, first 2 shown]
	v_add_f64 v[46:47], v[118:119], -v[64:65]
	v_add_f64 v[50:51], v[120:121], v[68:69]
	v_add_f64 v[64:65], v[48:49], v[12:13]
	v_add_f64 v[44:45], v[112:113], -v[70:71]
	v_add_f64 v[66:67], v[50:51], v[14:15]
	v_add_f64 v[68:69], v[48:49], -v[12:13]
	v_add_f64 v[12:13], v[12:13], -v[56:57]
	;; [unrolled: 1-line block ×3, first 2 shown]
	v_add_f64 v[112:113], v[60:61], v[52:53]
	v_add_f64 v[56:57], v[56:57], v[64:65]
	v_add_f64 v[70:71], v[50:51], -v[14:15]
	v_add_f64 v[14:15], v[14:15], -v[58:59]
	v_add_f64 v[50:51], v[58:59], -v[50:51]
	v_add_f64 v[114:115], v[62:63], v[54:55]
	v_add_f64 v[60:61], v[44:45], -v[60:61]
	v_add_f64 v[52:53], v[52:53], -v[44:45]
	v_add_f64 v[58:59], v[58:59], v[66:67]
	v_add_f64 v[64:65], v[112:113], v[44:45]
	;; [unrolled: 1-line block ×3, first 2 shown]
	v_add_f64 v[118:119], v[62:63], -v[54:55]
	v_add_f64 v[62:63], v[46:47], -v[62:63]
	;; [unrolled: 1-line block ×3, first 2 shown]
	v_add_f64 v[66:67], v[114:115], v[46:47]
	v_add_f64 v[46:47], v[10:11], v[58:59]
	v_mov_b64_e32 v[120:121], v[44:45]
	v_mul_f64 v[8:9], v[12:13], s[6:7]
	v_mul_f64 v[10:11], v[14:15], s[6:7]
	;; [unrolled: 1-line block ×6, first 2 shown]
	v_fmac_f64_e32 v[120:121], s[12:13], v[56:57]
	v_mov_b64_e32 v[56:57], v[46:47]
	v_fmac_f64_e32 v[56:57], s[12:13], v[58:59]
	v_fma_f64 v[12:13], v[68:69], s[14:15], -v[12:13]
	v_fma_f64 v[14:15], v[70:71], s[14:15], -v[14:15]
	v_fma_f64 v[58:59], v[68:69], s[16:17], -v[8:9]
	v_fmac_f64_e32 v[8:9], s[2:3], v[48:49]
	v_fma_f64 v[48:49], v[70:71], s[16:17], -v[10:11]
	v_fmac_f64_e32 v[10:11], s[2:3], v[50:51]
	v_fma_f64 v[68:69], v[52:53], s[8:9], -v[112:113]
	;; [unrolled: 2-line block ×3, first 2 shown]
	v_fmac_f64_e32 v[114:115], s[18:19], v[62:63]
	v_mul_f64 v[116:117], v[52:53], s[8:9]
	v_mul_f64 v[118:119], v[54:55], s[8:9]
	v_add_f64 v[8:9], v[8:9], v[120:121]
	v_add_f64 v[10:11], v[10:11], v[56:57]
	;; [unrolled: 1-line block ×4, first 2 shown]
	v_fmac_f64_e32 v[112:113], s[20:21], v[64:65]
	v_fmac_f64_e32 v[114:115], s[20:21], v[66:67]
	;; [unrolled: 1-line block ×4, first 2 shown]
	v_fma_f64 v[116:117], v[60:61], s[22:23], -v[116:117]
	v_fma_f64 v[118:119], v[62:63], s[22:23], -v[118:119]
	v_add_f64 v[120:121], v[58:59], v[120:121]
	v_add_f64 v[122:123], v[48:49], v[56:57]
	;; [unrolled: 1-line block ×3, first 2 shown]
	v_add_f64 v[50:51], v[10:11], -v[112:113]
	v_add_f64 v[56:57], v[12:13], -v[70:71]
	v_add_f64 v[58:59], v[68:69], v[14:15]
	v_add_f64 v[60:61], v[70:71], v[12:13]
	v_add_f64 v[62:63], v[14:15], -v[68:69]
	v_add_f64 v[68:69], v[8:9], -v[114:115]
	v_add_f64 v[70:71], v[112:113], v[10:11]
	v_add_f64 v[8:9], v[72:73], v[132:133]
	v_add_f64 v[10:11], v[78:79], v[42:43]
	v_add_f64 v[14:15], v[78:79], -v[42:43]
	v_add_f64 v[42:43], v[74:75], v[128:129]
	v_fmac_f64_e32 v[116:117], s[20:21], v[64:65]
	v_fmac_f64_e32 v[118:119], s[20:21], v[66:67]
	v_add_f64 v[12:13], v[72:73], -v[132:133]
	v_add_f64 v[72:73], v[80:81], v[130:131]
	v_add_f64 v[74:75], v[74:75], -v[128:129]
	v_add_f64 v[78:79], v[80:81], -v[130:131]
	v_add_f64 v[80:81], v[76:77], v[84:85]
	v_add_f64 v[112:113], v[82:83], v[86:87]
	v_add_f64 v[76:77], v[84:85], -v[76:77]
	v_add_f64 v[84:85], v[42:43], v[8:9]
	v_add_f64 v[52:53], v[118:119], v[120:121]
	v_add_f64 v[54:55], v[122:123], -v[116:117]
	v_add_f64 v[64:65], v[120:121], -v[118:119]
	v_add_f64 v[66:67], v[116:117], v[122:123]
	v_add_f64 v[82:83], v[86:87], -v[82:83]
	v_add_f64 v[86:87], v[72:73], v[10:11]
	v_add_f64 v[114:115], v[42:43], -v[8:9]
	v_add_f64 v[116:117], v[72:73], -v[10:11]
	;; [unrolled: 1-line block ×5, first 2 shown]
	v_add_f64 v[72:73], v[76:77], v[74:75]
	v_add_f64 v[80:81], v[80:81], v[84:85]
	;; [unrolled: 1-line block ×3, first 2 shown]
	v_add_f64 v[122:123], v[76:77], -v[74:75]
	v_add_f64 v[124:125], v[82:83], -v[78:79]
	;; [unrolled: 1-line block ×4, first 2 shown]
	v_add_f64 v[84:85], v[112:113], v[86:87]
	v_add_f64 v[12:13], v[72:73], v[12:13]
	;; [unrolled: 1-line block ×3, first 2 shown]
	v_add_f64 v[10:11], v[10:11], -v[112:113]
	v_add_f64 v[82:83], v[14:15], -v[82:83]
	;; [unrolled: 1-line block ×3, first 2 shown]
	v_add_f64 v[14:15], v[120:121], v[14:15]
	v_add_f64 v[74:75], v[6:7], v[84:85]
	v_mul_f64 v[120:121], v[124:125], s[10:11]
	v_mov_b64_e32 v[124:125], v[72:73]
	v_mul_f64 v[4:5], v[8:9], s[6:7]
	v_mul_f64 v[6:7], v[10:11], s[6:7]
	;; [unrolled: 1-line block ×5, first 2 shown]
	v_fmac_f64_e32 v[124:125], s[12:13], v[80:81]
	v_mov_b64_e32 v[80:81], v[74:75]
	v_mul_f64 v[122:123], v[78:79], s[8:9]
	v_fmac_f64_e32 v[80:81], s[12:13], v[84:85]
	v_fma_f64 v[8:9], v[114:115], s[14:15], -v[8:9]
	v_fma_f64 v[10:11], v[116:117], s[14:15], -v[10:11]
	;; [unrolled: 1-line block ×3, first 2 shown]
	v_fmac_f64_e32 v[4:5], s[2:3], v[42:43]
	v_fma_f64 v[42:43], v[116:117], s[16:17], -v[6:7]
	v_fmac_f64_e32 v[6:7], s[2:3], v[118:119]
	v_fma_f64 v[114:115], v[126:127], s[8:9], -v[112:113]
	v_fmac_f64_e32 v[112:113], s[18:19], v[76:77]
	v_mul_f64 v[86:87], v[126:127], s[8:9]
	v_fma_f64 v[116:117], v[78:79], s[8:9], -v[120:121]
	v_fmac_f64_e32 v[120:121], s[18:19], v[82:83]
	v_fma_f64 v[122:123], v[82:83], s[22:23], -v[122:123]
	v_add_f64 v[128:129], v[6:7], v[80:81]
	v_add_f64 v[6:7], v[10:11], v[80:81]
	v_fmac_f64_e32 v[112:113], s[20:21], v[12:13]
	v_fmac_f64_e32 v[114:115], s[20:21], v[12:13]
	v_fma_f64 v[118:119], v[76:77], s[22:23], -v[86:87]
	v_add_f64 v[10:11], v[42:43], v[80:81]
	v_fmac_f64_e32 v[120:121], s[20:21], v[14:15]
	v_fmac_f64_e32 v[116:117], s[20:21], v[14:15]
	;; [unrolled: 1-line block ×3, first 2 shown]
	v_add_f64 v[78:79], v[128:129], -v[112:113]
	v_add_f64 v[86:87], v[114:115], v[6:7]
	v_add_f64 v[6:7], v[6:7], -v[114:115]
	v_add_f64 v[14:15], v[112:113], v[128:129]
	v_add_f64 v[42:43], v[40:41], v[22:23]
	;; [unrolled: 1-line block ×3, first 2 shown]
	v_add_f64 v[22:23], v[40:41], -v[22:23]
	v_add_f64 v[40:41], v[36:37], v[26:27]
	v_add_f64 v[114:115], v[34:35], v[20:21]
	v_add_f64 v[126:127], v[4:5], v[124:125]
	v_add_f64 v[4:5], v[8:9], v[124:125]
	v_add_f64 v[8:9], v[84:85], v[124:125]
	v_fmac_f64_e32 v[118:119], s[20:21], v[12:13]
	v_add_f64 v[26:27], v[36:37], -v[26:27]
	v_add_f64 v[20:21], v[34:35], -v[20:21]
	v_add_f64 v[34:35], v[32:33], v[30:31]
	v_add_f64 v[36:37], v[28:29], v[24:25]
	v_add_f64 v[30:31], v[30:31], -v[32:33]
	v_add_f64 v[24:25], v[24:25], -v[28:29]
	v_add_f64 v[28:29], v[40:41], v[42:43]
	v_add_f64 v[32:33], v[114:115], v[112:113]
	;; [unrolled: 1-line block ×4, first 2 shown]
	v_add_f64 v[82:83], v[10:11], -v[118:119]
	v_add_f64 v[84:85], v[4:5], -v[116:117]
	v_add_f64 v[4:5], v[116:117], v[4:5]
	v_add_f64 v[8:9], v[8:9], -v[122:123]
	v_add_f64 v[10:11], v[118:119], v[10:11]
	v_add_f64 v[12:13], v[126:127], -v[120:121]
	v_add_f64 v[38:39], v[38:39], -v[136:137]
	;; [unrolled: 1-line block ×8, first 2 shown]
	v_add_f64 v[120:121], v[30:31], v[26:27]
	v_add_f64 v[122:123], v[24:25], v[20:21]
	v_add_f64 v[124:125], v[30:31], -v[26:27]
	v_add_f64 v[126:127], v[24:25], -v[20:21]
	;; [unrolled: 1-line block ×3, first 2 shown]
	v_add_f64 v[28:29], v[34:35], v[28:29]
	v_add_f64 v[32:33], v[36:37], v[32:33]
	v_add_f64 v[30:31], v[22:23], -v[30:31]
	v_add_f64 v[24:25], v[38:39], -v[24:25]
	;; [unrolled: 1-line block ×3, first 2 shown]
	v_add_f64 v[22:23], v[120:121], v[22:23]
	v_add_f64 v[34:35], v[122:123], v[38:39]
	;; [unrolled: 1-line block ×4, first 2 shown]
	v_mul_f64 v[36:37], v[42:43], s[6:7]
	v_mul_f64 v[38:39], v[112:113], s[6:7]
	;; [unrolled: 1-line block ×7, first 2 shown]
	v_fma_f64 v[28:29], s[12:13], v[28:29], v[16:17]
	v_fma_f64 v[32:33], s[12:13], v[32:33], v[18:19]
	;; [unrolled: 1-line block ×3, first 2 shown]
	v_fma_f64 v[42:43], v[116:117], s[14:15], -v[42:43]
	v_fma_f64 v[112:113], v[118:119], s[14:15], -v[112:113]
	;; [unrolled: 1-line block ×4, first 2 shown]
	v_fmac_f64_e32 v[38:39], s[2:3], v[114:115]
	v_fma_f64 v[114:115], s[18:19], v[30:31], v[120:121]
	v_fma_f64 v[118:119], v[26:27], s[8:9], -v[120:121]
	v_fma_f64 v[120:121], v[20:21], s[8:9], -v[122:123]
	;; [unrolled: 1-line block ×3, first 2 shown]
	v_add_f64 v[128:129], v[38:39], v[32:33]
	v_add_f64 v[38:39], v[42:43], v[28:29]
	;; [unrolled: 1-line block ×4, first 2 shown]
	v_fmac_f64_e32 v[120:121], s[20:21], v[34:35]
	v_fmac_f64_e32 v[124:125], s[20:21], v[22:23]
	v_add_f64 v[40:41], v[40:41], v[28:29]
	v_add_f64 v[36:37], v[36:37], v[28:29]
	v_add_f64 v[26:27], v[112:113], -v[124:125]
	v_add_f64 v[28:29], v[38:39], -v[120:121]
	v_add_f64 v[32:33], v[120:121], v[38:39]
	v_add_f64 v[38:39], v[124:125], v[112:113]
	v_mov_b32_e32 v112, 4
	v_lshlrev_b32_sdwa v107, v112, v107 dst_sel:DWORD dst_unused:UNUSED_PAD src0_sel:DWORD src1_sel:BYTE_0
	v_add3_u32 v105, 0, v105, v107
	ds_write_b128 v105, v[44:47]
	ds_write_b128 v105, v[48:51] offset:192
	ds_write_b128 v105, v[52:55] offset:384
	;; [unrolled: 1-line block ×6, first 2 shown]
	v_mul_u32_u24_e32 v44, 0x540, v109
	v_lshlrev_b32_sdwa v45, v112, v111 dst_sel:DWORD dst_unused:UNUSED_PAD src0_sel:DWORD src1_sel:BYTE_0
	v_mul_f64 v[126:127], v[20:21], s[8:9]
	v_add3_u32 v44, 0, v44, v45
	v_fmac_f64_e32 v[122:123], s[18:19], v[24:25]
	v_fma_f64 v[126:127], v[24:25], s[22:23], -v[126:127]
	ds_write_b128 v44, v[72:75]
	ds_write_b128 v44, v[76:79] offset:192
	ds_write_b128 v44, v[80:83] offset:384
	;; [unrolled: 1-line block ×6, first 2 shown]
	v_mul_u32_u24_e32 v44, 0x540, v144
	v_lshlrev_b32_sdwa v45, v112, v145 dst_sel:DWORD dst_unused:UNUSED_PAD src0_sel:DWORD src1_sel:BYTE_0
	v_fmac_f64_e32 v[114:115], s[20:21], v[22:23]
	v_fmac_f64_e32 v[122:123], s[20:21], v[34:35]
	;; [unrolled: 1-line block ×4, first 2 shown]
	v_add3_u32 v44, 0, v44, v45
	v_add_f64 v[20:21], v[122:123], v[40:41]
	v_add_f64 v[22:23], v[128:129], -v[114:115]
	v_add_f64 v[24:25], v[126:127], v[36:37]
	v_add_f64 v[30:31], v[118:119], v[42:43]
	v_add_f64 v[34:35], v[42:43], -v[118:119]
	v_add_f64 v[36:37], v[36:37], -v[126:127]
	;; [unrolled: 1-line block ×3, first 2 shown]
	v_add_f64 v[42:43], v[114:115], v[128:129]
	ds_write_b128 v44, v[16:19]
	ds_write_b128 v44, v[20:23] offset:192
	ds_write_b128 v44, v[24:27] offset:384
	;; [unrolled: 1-line block ×6, first 2 shown]
	s_waitcnt lgkmcnt(0)
	; wave barrier
	s_waitcnt lgkmcnt(0)
	ds_read_b128 v[44:47], v138
	ds_read_b128 v[84:87], v138 offset:1344
	ds_read_b128 v[80:83], v138 offset:2688
	;; [unrolled: 1-line block ×10, first 2 shown]
	v_cmp_gt_u32_e64 s[2:3], 40, v88
	s_and_saveexec_b64 s[6:7], s[2:3]
	s_cbranch_execz .LBB0_21
; %bb.20:
	ds_read_b128 v[4:7], v103
	ds_read_b128 v[8:11], v138 offset:2048
	ds_read_b128 v[12:15], v138 offset:3392
	;; [unrolled: 1-line block ×10, first 2 shown]
.LBB0_21:
	s_or_b64 exec, exec, s[6:7]
	v_mul_u32_u24_e32 v105, 10, v88
	v_lshlrev_b32_e32 v105, 4, v105
	global_load_dwordx4 v[112:115], v105, s[4:5] offset:1360
	global_load_dwordx4 v[116:119], v105, s[4:5] offset:1344
	;; [unrolled: 1-line block ×4, first 2 shown]
	s_mov_b32 s8, 0xf8bb580b
	s_mov_b32 s10, 0x8eee2c13
	;; [unrolled: 1-line block ×30, first 2 shown]
	s_waitcnt vmcnt(0) lgkmcnt(9)
	v_mul_f64 v[128:129], v[86:87], v[126:127]
	v_fmac_f64_e32 v[128:129], v[84:85], v[124:125]
	v_mul_f64 v[84:85], v[84:85], v[126:127]
	v_fma_f64 v[86:87], v[86:87], v[124:125], -v[84:85]
	s_waitcnt lgkmcnt(8)
	v_mul_f64 v[84:85], v[82:83], v[122:123]
	v_fmac_f64_e32 v[84:85], v[80:81], v[120:121]
	v_mul_f64 v[80:81], v[80:81], v[122:123]
	v_fma_f64 v[82:83], v[82:83], v[120:121], -v[80:81]
	s_waitcnt lgkmcnt(7)
	;; [unrolled: 5-line block ×3, first 2 shown]
	v_mul_f64 v[76:77], v[74:75], v[114:115]
	v_fmac_f64_e32 v[76:77], v[72:73], v[112:113]
	v_mul_f64 v[72:73], v[72:73], v[114:115]
	v_fma_f64 v[72:73], v[74:75], v[112:113], -v[72:73]
	global_load_dwordx4 v[112:115], v105, s[4:5] offset:1424
	global_load_dwordx4 v[116:119], v105, s[4:5] offset:1408
	;; [unrolled: 1-line block ×4, first 2 shown]
	s_waitcnt vmcnt(0) lgkmcnt(5)
	v_mul_f64 v[74:75], v[70:71], v[126:127]
	v_fmac_f64_e32 v[74:75], v[68:69], v[124:125]
	v_mul_f64 v[68:69], v[68:69], v[126:127]
	v_fma_f64 v[68:69], v[70:71], v[124:125], -v[68:69]
	s_waitcnt lgkmcnt(4)
	v_mul_f64 v[70:71], v[66:67], v[122:123]
	v_fmac_f64_e32 v[70:71], v[64:65], v[120:121]
	v_mul_f64 v[64:65], v[64:65], v[122:123]
	v_fma_f64 v[64:65], v[66:67], v[120:121], -v[64:65]
	s_waitcnt lgkmcnt(3)
	;; [unrolled: 5-line block ×3, first 2 shown]
	v_mul_f64 v[62:63], v[58:59], v[114:115]
	v_fmac_f64_e32 v[62:63], v[56:57], v[112:113]
	v_mul_f64 v[56:57], v[56:57], v[114:115]
	v_fma_f64 v[56:57], v[58:59], v[112:113], -v[56:57]
	global_load_dwordx4 v[112:115], v105, s[4:5] offset:1456
	global_load_dwordx4 v[116:119], v105, s[4:5] offset:1440
	s_waitcnt lgkmcnt(0)
	; wave barrier
	s_waitcnt vmcnt(0) lgkmcnt(0)
	v_mul_f64 v[58:59], v[54:55], v[118:119]
	v_fmac_f64_e32 v[58:59], v[52:53], v[116:117]
	v_mul_f64 v[52:53], v[52:53], v[118:119]
	v_fma_f64 v[52:53], v[54:55], v[116:117], -v[52:53]
	v_mul_f64 v[54:55], v[50:51], v[114:115]
	v_fmac_f64_e32 v[54:55], v[48:49], v[112:113]
	v_mul_f64 v[48:49], v[48:49], v[114:115]
	v_fma_f64 v[112:113], v[50:51], v[112:113], -v[48:49]
	v_add_f64 v[50:51], v[46:47], v[86:87]
	v_add_f64 v[50:51], v[50:51], v[82:83]
	;; [unrolled: 1-line block ×17, first 2 shown]
	v_add_f64 v[86:87], v[86:87], -v[112:113]
	v_add_f64 v[48:49], v[48:49], v[62:63]
	v_add_f64 v[50:51], v[50:51], v[112:113]
	;; [unrolled: 1-line block ×3, first 2 shown]
	v_mul_f64 v[112:113], v[86:87], s[8:9]
	v_mul_f64 v[124:125], v[86:87], s[10:11]
	;; [unrolled: 1-line block ×5, first 2 shown]
	v_add_f64 v[48:49], v[48:49], v[58:59]
	v_fma_f64 v[118:119], s[6:7], v[114:115], v[112:113]
	v_fma_f64 v[112:113], v[114:115], s[6:7], -v[112:113]
	v_fma_f64 v[126:127], s[12:13], v[114:115], v[124:125]
	v_fma_f64 v[124:125], v[114:115], s[12:13], -v[124:125]
	;; [unrolled: 2-line block ×5, first 2 shown]
	v_add_f64 v[48:49], v[48:49], v[54:55]
	v_add_f64 v[54:55], v[128:129], -v[54:55]
	v_add_f64 v[118:119], v[44:45], v[118:119]
	v_mul_f64 v[120:121], v[116:117], s[6:7]
	v_add_f64 v[112:113], v[44:45], v[112:113]
	v_add_f64 v[126:127], v[44:45], v[126:127]
	v_mul_f64 v[128:129], v[116:117], s[12:13]
	v_add_f64 v[124:125], v[44:45], v[124:125]
	;; [unrolled: 3-line block ×5, first 2 shown]
	v_add_f64 v[86:87], v[82:83], v[52:53]
	v_add_f64 v[52:53], v[82:83], -v[52:53]
	v_fma_f64 v[122:123], s[14:15], v[54:55], v[120:121]
	v_fmac_f64_e32 v[120:121], s[8:9], v[54:55]
	v_fma_f64 v[130:131], s[30:31], v[54:55], v[128:129]
	v_fmac_f64_e32 v[128:129], s[10:11], v[54:55]
	;; [unrolled: 2-line block ×5, first 2 shown]
	v_add_f64 v[54:55], v[84:85], v[58:59]
	v_add_f64 v[58:59], v[84:85], -v[58:59]
	v_mul_f64 v[82:83], v[52:53], s[10:11]
	v_mul_f64 v[114:115], v[86:87], s[12:13]
	v_add_f64 v[122:123], v[46:47], v[122:123]
	v_add_f64 v[120:121], v[46:47], v[120:121]
	;; [unrolled: 1-line block ×10, first 2 shown]
	v_fma_f64 v[84:85], s[12:13], v[54:55], v[82:83]
	v_fma_f64 v[116:117], s[30:31], v[58:59], v[114:115]
	v_fma_f64 v[82:83], v[54:55], s[12:13], -v[82:83]
	v_fmac_f64_e32 v[114:115], s[10:11], v[58:59]
	v_add_f64 v[82:83], v[82:83], v[112:113]
	v_add_f64 v[112:113], v[114:115], v[120:121]
	v_mul_f64 v[114:115], v[52:53], s[22:23]
	v_add_f64 v[84:85], v[84:85], v[118:119]
	v_fma_f64 v[118:119], s[20:21], v[54:55], v[114:115]
	v_fma_f64 v[114:115], v[54:55], s[20:21], -v[114:115]
	v_mul_f64 v[120:121], v[86:87], s[20:21]
	v_add_f64 v[114:115], v[114:115], v[124:125]
	v_mul_f64 v[124:125], v[52:53], s[34:35]
	v_add_f64 v[116:117], v[116:117], v[122:123]
	v_add_f64 v[118:119], v[118:119], v[126:127]
	v_fma_f64 v[122:123], s[36:37], v[58:59], v[120:121]
	v_fmac_f64_e32 v[120:121], s[22:23], v[58:59]
	v_fma_f64 v[126:127], s[24:25], v[54:55], v[124:125]
	v_fma_f64 v[124:125], v[54:55], s[24:25], -v[124:125]
	v_add_f64 v[120:121], v[120:121], v[128:129]
	v_mul_f64 v[128:129], v[86:87], s[24:25]
	v_add_f64 v[124:125], v[124:125], v[132:133]
	v_mul_f64 v[132:133], v[52:53], s[28:29]
	v_add_f64 v[122:123], v[122:123], v[130:131]
	v_add_f64 v[126:127], v[126:127], v[134:135]
	v_fma_f64 v[130:131], s[26:27], v[58:59], v[128:129]
	v_fmac_f64_e32 v[128:129], s[34:35], v[58:59]
	v_fma_f64 v[134:135], s[16:17], v[54:55], v[132:133]
	v_fma_f64 v[132:133], v[54:55], s[16:17], -v[132:133]
	v_mul_f64 v[52:53], v[52:53], s[14:15]
	v_add_f64 v[128:129], v[128:129], v[136:137]
	v_mul_f64 v[136:137], v[86:87], s[16:17]
	v_add_f64 v[132:133], v[132:133], v[146:147]
	v_fma_f64 v[146:147], s[6:7], v[54:55], v[52:53]
	v_mul_f64 v[86:87], v[86:87], s[6:7]
	v_fma_f64 v[52:53], v[54:55], s[6:7], -v[52:53]
	v_add_f64 v[54:55], v[78:79], v[56:57]
	v_add_f64 v[56:57], v[78:79], -v[56:57]
	v_add_f64 v[130:131], v[130:131], v[144:145]
	v_add_f64 v[134:135], v[134:135], v[148:149]
	v_fma_f64 v[144:145], s[18:19], v[58:59], v[136:137]
	v_fmac_f64_e32 v[136:137], s[28:29], v[58:59]
	v_fma_f64 v[148:149], s[8:9], v[58:59], v[86:87]
	v_add_f64 v[44:45], v[52:53], v[44:45]
	v_fmac_f64_e32 v[86:87], s[14:15], v[58:59]
	v_add_f64 v[52:53], v[80:81], v[62:63]
	v_add_f64 v[58:59], v[80:81], -v[62:63]
	v_mul_f64 v[62:63], v[56:57], s[18:19]
	v_fma_f64 v[78:79], s[16:17], v[52:53], v[62:63]
	v_mul_f64 v[80:81], v[54:55], s[16:17]
	v_fma_f64 v[62:63], v[52:53], s[16:17], -v[62:63]
	v_add_f64 v[78:79], v[78:79], v[84:85]
	v_fma_f64 v[84:85], s[28:29], v[58:59], v[80:81]
	v_add_f64 v[62:63], v[62:63], v[82:83]
	v_fmac_f64_e32 v[80:81], s[18:19], v[58:59]
	v_mul_f64 v[82:83], v[56:57], s[34:35]
	v_add_f64 v[46:47], v[86:87], v[46:47]
	v_add_f64 v[80:81], v[80:81], v[112:113]
	v_fma_f64 v[86:87], s[24:25], v[52:53], v[82:83]
	v_mul_f64 v[112:113], v[54:55], s[24:25]
	v_fma_f64 v[82:83], v[52:53], s[24:25], -v[82:83]
	v_add_f64 v[84:85], v[84:85], v[116:117]
	v_fma_f64 v[116:117], s[26:27], v[58:59], v[112:113]
	v_add_f64 v[82:83], v[82:83], v[114:115]
	v_fmac_f64_e32 v[112:113], s[34:35], v[58:59]
	v_mul_f64 v[114:115], v[56:57], s[30:31]
	v_add_f64 v[86:87], v[86:87], v[118:119]
	v_add_f64 v[112:113], v[112:113], v[120:121]
	;; [unrolled: 10-line block ×3, first 2 shown]
	v_fma_f64 v[126:127], s[6:7], v[52:53], v[124:125]
	v_mul_f64 v[128:129], v[54:55], s[6:7]
	v_mul_f64 v[54:55], v[54:55], s[20:21]
	v_add_f64 v[126:127], v[126:127], v[134:135]
	v_fma_f64 v[124:125], v[52:53], s[6:7], -v[124:125]
	v_mul_f64 v[56:57], v[56:57], s[22:23]
	v_fma_f64 v[134:135], s[36:37], v[58:59], v[54:55]
	v_fmac_f64_e32 v[54:55], s[22:23], v[58:59]
	v_add_f64 v[122:123], v[122:123], v[130:131]
	v_fma_f64 v[130:131], s[14:15], v[58:59], v[128:129]
	v_add_f64 v[124:125], v[124:125], v[132:133]
	v_fmac_f64_e32 v[128:129], s[8:9], v[58:59]
	v_fma_f64 v[132:133], s[20:21], v[52:53], v[56:57]
	v_fma_f64 v[52:53], v[52:53], s[20:21], -v[56:57]
	v_add_f64 v[46:47], v[54:55], v[46:47]
	v_add_f64 v[54:55], v[72:73], v[60:61]
	v_add_f64 v[58:59], v[72:73], -v[60:61]
	v_add_f64 v[44:45], v[52:53], v[44:45]
	v_add_f64 v[52:53], v[76:77], v[66:67]
	v_add_f64 v[56:57], v[76:77], -v[66:67]
	v_mul_f64 v[60:61], v[58:59], s[22:23]
	v_mul_f64 v[72:73], v[54:55], s[20:21]
	v_fma_f64 v[66:67], s[20:21], v[52:53], v[60:61]
	v_fma_f64 v[76:77], s[36:37], v[56:57], v[72:73]
	v_fma_f64 v[60:61], v[52:53], s[20:21], -v[60:61]
	v_fmac_f64_e32 v[72:73], s[22:23], v[56:57]
	v_add_f64 v[60:61], v[60:61], v[62:63]
	v_add_f64 v[62:63], v[72:73], v[80:81]
	v_mul_f64 v[72:73], v[58:59], s[28:29]
	v_add_f64 v[66:67], v[66:67], v[78:79]
	v_fma_f64 v[78:79], s[16:17], v[52:53], v[72:73]
	v_mul_f64 v[80:81], v[54:55], s[16:17]
	v_fma_f64 v[72:73], v[52:53], s[16:17], -v[72:73]
	v_add_f64 v[76:77], v[76:77], v[84:85]
	v_fma_f64 v[84:85], s[18:19], v[56:57], v[80:81]
	v_add_f64 v[72:73], v[72:73], v[82:83]
	v_fmac_f64_e32 v[80:81], s[28:29], v[56:57]
	v_mul_f64 v[82:83], v[58:59], s[8:9]
	v_add_f64 v[78:79], v[78:79], v[86:87]
	v_add_f64 v[80:81], v[80:81], v[112:113]
	v_fma_f64 v[86:87], s[6:7], v[52:53], v[82:83]
	v_mul_f64 v[112:113], v[54:55], s[6:7]
	v_fma_f64 v[82:83], v[52:53], s[6:7], -v[82:83]
	v_add_f64 v[84:85], v[84:85], v[116:117]
	v_fma_f64 v[116:117], s[14:15], v[56:57], v[112:113]
	v_add_f64 v[82:83], v[82:83], v[114:115]
	v_fmac_f64_e32 v[112:113], s[8:9], v[56:57]
	v_mul_f64 v[114:115], v[58:59], s[26:27]
	v_add_f64 v[148:149], v[148:149], v[156:157]
	v_add_f64 v[86:87], v[86:87], v[118:119]
	;; [unrolled: 1-line block ×3, first 2 shown]
	v_fma_f64 v[118:119], s[24:25], v[52:53], v[114:115]
	v_mul_f64 v[120:121], v[54:55], s[24:25]
	v_mul_f64 v[54:55], v[54:55], s[12:13]
	v_add_f64 v[144:145], v[144:145], v[152:153]
	v_add_f64 v[136:137], v[136:137], v[150:151]
	;; [unrolled: 1-line block ×5, first 2 shown]
	v_fma_f64 v[114:115], v[52:53], s[24:25], -v[114:115]
	v_mul_f64 v[58:59], v[58:59], s[30:31]
	v_fma_f64 v[126:127], s[10:11], v[56:57], v[54:55]
	v_add_f64 v[130:131], v[130:131], v[144:145]
	v_add_f64 v[128:129], v[128:129], v[136:137]
	;; [unrolled: 1-line block ×4, first 2 shown]
	v_fma_f64 v[122:123], s[34:35], v[56:57], v[120:121]
	v_add_f64 v[114:115], v[114:115], v[124:125]
	v_fmac_f64_e32 v[120:121], s[26:27], v[56:57]
	v_fma_f64 v[124:125], s[12:13], v[52:53], v[58:59]
	v_add_f64 v[126:127], v[126:127], v[134:135]
	v_fma_f64 v[52:53], v[52:53], s[12:13], -v[58:59]
	v_fmac_f64_e32 v[54:55], s[30:31], v[56:57]
	v_add_f64 v[134:135], v[68:69], v[64:65]
	v_add_f64 v[144:145], v[68:69], -v[64:65]
	v_add_f64 v[122:123], v[122:123], v[130:131]
	v_add_f64 v[120:121], v[120:121], v[128:129]
	;; [unrolled: 1-line block ×6, first 2 shown]
	v_add_f64 v[136:137], v[74:75], -v[70:71]
	v_mul_f64 v[52:53], v[144:145], s[26:27]
	v_mul_f64 v[54:55], v[134:135], s[24:25]
	v_fma_f64 v[44:45], s[24:25], v[132:133], v[52:53]
	v_fma_f64 v[46:47], s[34:35], v[136:137], v[54:55]
	v_fma_f64 v[52:53], v[132:133], s[24:25], -v[52:53]
	v_fmac_f64_e32 v[54:55], s[26:27], v[136:137]
	v_add_f64 v[52:53], v[52:53], v[60:61]
	v_add_f64 v[54:55], v[54:55], v[62:63]
	v_mul_f64 v[60:61], v[144:145], s[14:15]
	v_mul_f64 v[62:63], v[134:135], s[6:7]
	;; [unrolled: 1-line block ×3, first 2 shown]
	v_fma_f64 v[56:57], s[6:7], v[132:133], v[60:61]
	v_fma_f64 v[58:59], s[8:9], v[136:137], v[62:63]
	;; [unrolled: 1-line block ×3, first 2 shown]
	v_add_f64 v[46:47], v[46:47], v[76:77]
	v_add_f64 v[56:57], v[56:57], v[78:79]
	;; [unrolled: 1-line block ×3, first 2 shown]
	v_fma_f64 v[60:61], v[132:133], s[6:7], -v[60:61]
	v_fmac_f64_e32 v[62:63], s[14:15], v[136:137]
	v_add_f64 v[64:65], v[64:65], v[86:87]
	v_mul_f64 v[70:71], v[134:135], s[20:21]
	v_fma_f64 v[68:69], v[132:133], s[20:21], -v[68:69]
	v_mul_f64 v[76:77], v[144:145], s[30:31]
	v_mul_f64 v[78:79], v[134:135], s[12:13]
	;; [unrolled: 1-line block ×4, first 2 shown]
	v_add_f64 v[44:45], v[44:45], v[66:67]
	v_add_f64 v[60:61], v[60:61], v[72:73]
	;; [unrolled: 1-line block ×3, first 2 shown]
	v_fma_f64 v[66:67], s[36:37], v[136:137], v[70:71]
	v_add_f64 v[68:69], v[68:69], v[82:83]
	v_fmac_f64_e32 v[70:71], s[22:23], v[136:137]
	v_fma_f64 v[72:73], s[12:13], v[132:133], v[76:77]
	v_fma_f64 v[74:75], s[10:11], v[136:137], v[78:79]
	v_fma_f64 v[76:77], v[132:133], s[12:13], -v[76:77]
	v_fmac_f64_e32 v[78:79], s[30:31], v[136:137]
	v_fma_f64 v[80:81], s[16:17], v[132:133], v[84:85]
	v_fma_f64 v[82:83], s[28:29], v[136:137], v[86:87]
	v_fma_f64 v[84:85], v[132:133], s[16:17], -v[84:85]
	v_fmac_f64_e32 v[86:87], s[18:19], v[136:137]
	v_add_f64 v[66:67], v[66:67], v[116:117]
	v_add_f64 v[70:71], v[70:71], v[112:113]
	;; [unrolled: 1-line block ×10, first 2 shown]
	ds_write_b128 v138, v[48:51]
	ds_write_b128 v138, v[44:47] offset:1344
	ds_write_b128 v138, v[56:59] offset:2688
	;; [unrolled: 1-line block ×10, first 2 shown]
	s_and_saveexec_b64 s[36:37], s[2:3]
	s_cbranch_execz .LBB0_23
; %bb.22:
	v_subrev_u32_e32 v44, 40, v88
	v_cndmask_b32_e64 v44, v44, v92, s[2:3]
	v_mul_i32_i24_e32 v44, 10, v44
	v_mov_b32_e32 v45, 0
	v_lshl_add_u64 v[44:45], v[44:45], 4, s[4:5]
	global_load_dwordx4 v[64:67], v[44:45], off offset:1376
	global_load_dwordx4 v[68:71], v[44:45], off offset:1392
	;; [unrolled: 1-line block ×10, first 2 shown]
	s_waitcnt vmcnt(9)
	v_mul_f64 v[44:45], v[26:27], v[66:67]
	s_waitcnt vmcnt(8)
	v_mul_f64 v[46:47], v[30:31], v[70:71]
	;; [unrolled: 2-line block ×4, first 2 shown]
	v_mul_f64 v[78:79], v[32:33], v[78:79]
	s_waitcnt vmcnt(4)
	v_mul_f64 v[52:53], v[38:39], v[86:87]
	v_mul_f64 v[86:87], v[36:37], v[86:87]
	s_waitcnt vmcnt(3)
	v_mul_f64 v[58:59], v[14:15], v[114:115]
	s_waitcnt vmcnt(1)
	;; [unrolled: 2-line block ×3, first 2 shown]
	v_mul_f64 v[60:61], v[2:3], v[126:127]
	v_mul_f64 v[56:57], v[42:43], v[118:119]
	;; [unrolled: 1-line block ×4, first 2 shown]
	v_fmac_f64_e32 v[62:63], v[8:9], v[120:121]
	v_fmac_f64_e32 v[60:61], v[0:1], v[124:125]
	v_mul_f64 v[66:67], v[24:25], v[66:67]
	v_mul_f64 v[70:71], v[28:29], v[70:71]
	;; [unrolled: 1-line block ×6, first 2 shown]
	v_fmac_f64_e32 v[46:47], v[28:29], v[68:69]
	v_fmac_f64_e32 v[48:49], v[20:21], v[72:73]
	v_fma_f64 v[20:21], v[34:35], v[76:77], -v[78:79]
	v_fma_f64 v[28:29], v[38:39], v[84:85], -v[86:87]
	v_fmac_f64_e32 v[58:59], v[12:13], v[112:113]
	v_fmac_f64_e32 v[56:57], v[40:41], v[116:117]
	v_fma_f64 v[38:39], v[10:11], v[120:121], -v[122:123]
	v_fma_f64 v[34:35], v[2:3], v[124:125], -v[126:127]
	v_add_f64 v[86:87], v[62:63], -v[60:61]
	v_mul_f64 v[82:83], v[16:17], v[82:83]
	v_fmac_f64_e32 v[44:45], v[24:25], v[64:65]
	v_fma_f64 v[24:25], v[26:27], v[64:65], -v[66:67]
	v_fma_f64 v[26:27], v[30:31], v[68:69], -v[70:71]
	v_fmac_f64_e32 v[54:55], v[16:17], v[80:81]
	v_fmac_f64_e32 v[52:53], v[36:37], v[84:85]
	v_fma_f64 v[36:37], v[14:15], v[112:113], -v[114:115]
	v_fma_f64 v[30:31], v[42:43], v[116:117], -v[118:119]
	v_add_f64 v[84:85], v[58:59], -v[56:57]
	v_add_f64 v[68:69], v[38:39], v[34:35]
	v_mul_f64 v[16:17], v[86:87], s[26:27]
	v_fmac_f64_e32 v[50:51], v[32:33], v[76:77]
	v_fma_f64 v[32:33], v[18:19], v[80:81], -v[82:83]
	v_add_f64 v[82:83], v[54:55], -v[52:53]
	v_add_f64 v[66:67], v[36:37], v[30:31]
	v_mul_f64 v[14:15], v[84:85], s[14:15]
	v_fma_f64 v[128:129], s[24:25], v[68:69], v[16:17]
	v_fma_f64 v[22:23], v[22:23], v[72:73], -v[74:75]
	v_add_f64 v[80:81], v[48:49], -v[50:51]
	v_add_f64 v[64:65], v[32:33], v[28:29]
	v_mul_f64 v[12:13], v[82:83], s[22:23]
	v_fma_f64 v[126:127], s[6:7], v[66:67], v[14:15]
	v_add_f64 v[128:129], v[6:7], v[128:129]
	v_add_f64 v[42:43], v[22:23], v[20:21]
	v_mul_f64 v[10:11], v[80:81], s[30:31]
	v_fma_f64 v[112:113], s[20:21], v[64:65], v[12:13]
	v_add_f64 v[126:127], v[126:127], v[128:129]
	v_add_f64 v[78:79], v[44:45], -v[46:47]
	v_fma_f64 v[2:3], s[12:13], v[42:43], v[10:11]
	v_add_f64 v[112:113], v[112:113], v[126:127]
	v_add_f64 v[144:145], v[38:39], -v[34:35]
	v_add_f64 v[40:41], v[24:25], v[26:27]
	v_add_f64 v[120:121], v[36:37], -v[30:31]
	v_mul_f64 v[8:9], v[78:79], s[18:19]
	v_add_f64 v[2:3], v[2:3], v[112:113]
	v_add_f64 v[112:113], v[62:63], v[60:61]
	v_mul_f64 v[128:129], v[144:145], s[26:27]
	v_fma_f64 v[16:17], v[68:69], s[24:25], -v[16:17]
	v_add_f64 v[118:119], v[32:33], -v[28:29]
	v_add_f64 v[76:77], v[58:59], v[56:57]
	v_fma_f64 v[0:1], s[16:17], v[40:41], v[8:9]
	v_mul_f64 v[126:127], v[120:121], s[14:15]
	v_fma_f64 v[136:137], v[112:113], s[24:25], -v[128:129]
	v_fma_f64 v[14:15], v[66:67], s[6:7], -v[14:15]
	v_add_f64 v[16:17], v[6:7], v[16:17]
	v_add_f64 v[116:117], v[22:23], -v[20:21]
	v_add_f64 v[74:75], v[54:55], v[52:53]
	v_mul_f64 v[124:125], v[118:119], s[22:23]
	v_add_f64 v[2:3], v[0:1], v[2:3]
	v_fma_f64 v[0:1], v[76:77], s[6:7], -v[126:127]
	v_add_f64 v[136:137], v[4:5], v[136:137]
	v_fma_f64 v[12:13], v[64:65], s[20:21], -v[12:13]
	v_add_f64 v[14:15], v[14:15], v[16:17]
	v_add_f64 v[114:115], v[24:25], -v[26:27]
	v_add_f64 v[72:73], v[48:49], v[50:51]
	v_mul_f64 v[122:123], v[116:117], s[30:31]
	v_fma_f64 v[134:135], v[74:75], s[20:21], -v[124:125]
	v_add_f64 v[0:1], v[0:1], v[136:137]
	v_fma_f64 v[10:11], v[42:43], s[12:13], -v[10:11]
	v_add_f64 v[12:13], v[12:13], v[14:15]
	v_add_f64 v[70:71], v[44:45], v[46:47]
	v_mul_f64 v[18:19], v[114:115], s[18:19]
	v_fma_f64 v[132:133], v[72:73], s[12:13], -v[122:123]
	v_add_f64 v[0:1], v[134:135], v[0:1]
	v_fma_f64 v[8:9], v[40:41], s[16:17], -v[8:9]
	v_add_f64 v[10:11], v[10:11], v[12:13]
	v_fmac_f64_e32 v[128:129], s[24:25], v[112:113]
	v_fma_f64 v[130:131], v[70:71], s[16:17], -v[18:19]
	v_add_f64 v[0:1], v[132:133], v[0:1]
	v_add_f64 v[10:11], v[8:9], v[10:11]
	v_fmac_f64_e32 v[126:127], s[6:7], v[76:77]
	v_add_f64 v[8:9], v[4:5], v[128:129]
	v_add_f64 v[0:1], v[130:131], v[0:1]
	v_fmac_f64_e32 v[124:125], s[20:21], v[74:75]
	v_add_f64 v[8:9], v[126:127], v[8:9]
	v_mul_f64 v[130:131], v[86:87], s[22:23]
	v_fmac_f64_e32 v[122:123], s[12:13], v[72:73]
	v_add_f64 v[8:9], v[124:125], v[8:9]
	v_mul_f64 v[126:127], v[84:85], s[28:29]
	v_fma_f64 v[132:133], s[20:21], v[68:69], v[130:131]
	v_fma_f64 v[130:131], v[68:69], s[20:21], -v[130:131]
	v_fmac_f64_e32 v[18:19], s[16:17], v[70:71]
	v_add_f64 v[8:9], v[122:123], v[8:9]
	v_mul_f64 v[122:123], v[82:83], s[8:9]
	v_fma_f64 v[128:129], s[16:17], v[66:67], v[126:127]
	v_fma_f64 v[126:127], v[66:67], s[16:17], -v[126:127]
	v_add_f64 v[130:131], v[6:7], v[130:131]
	v_add_f64 v[8:9], v[18:19], v[8:9]
	v_mul_f64 v[18:19], v[80:81], s[26:27]
	v_fma_f64 v[124:125], s[6:7], v[64:65], v[122:123]
	v_fma_f64 v[122:123], v[64:65], s[6:7], -v[122:123]
	v_add_f64 v[126:127], v[126:127], v[130:131]
	v_mul_f64 v[16:17], v[78:79], s[30:31]
	v_fma_f64 v[14:15], s[24:25], v[42:43], v[18:19]
	v_mul_f64 v[150:151], v[144:145], s[22:23]
	v_fma_f64 v[18:19], v[42:43], s[24:25], -v[18:19]
	v_add_f64 v[122:123], v[122:123], v[126:127]
	v_fma_f64 v[12:13], s[12:13], v[40:41], v[16:17]
	v_add_f64 v[132:133], v[6:7], v[132:133]
	v_mul_f64 v[146:147], v[120:121], s[28:29]
	v_fma_f64 v[152:153], v[112:113], s[20:21], -v[150:151]
	v_fma_f64 v[16:17], v[40:41], s[12:13], -v[16:17]
	v_add_f64 v[18:19], v[18:19], v[122:123]
	v_fmac_f64_e32 v[150:151], s[20:21], v[112:113]
	v_add_f64 v[128:129], v[128:129], v[132:133]
	v_mul_f64 v[134:135], v[118:119], s[8:9]
	v_fma_f64 v[148:149], v[76:77], s[16:17], -v[146:147]
	v_add_f64 v[152:153], v[4:5], v[152:153]
	v_add_f64 v[18:19], v[16:17], v[18:19]
	v_fmac_f64_e32 v[146:147], s[16:17], v[76:77]
	v_add_f64 v[16:17], v[4:5], v[150:151]
	v_add_f64 v[124:125], v[124:125], v[128:129]
	v_mul_f64 v[128:129], v[116:117], s[26:27]
	v_fma_f64 v[136:137], v[74:75], s[6:7], -v[134:135]
	v_add_f64 v[148:149], v[148:149], v[152:153]
	v_fmac_f64_e32 v[134:135], s[6:7], v[74:75]
	v_add_f64 v[16:17], v[146:147], v[16:17]
	v_mul_f64 v[146:147], v[86:87], s[18:19]
	v_add_f64 v[14:15], v[14:15], v[124:125]
	v_mul_f64 v[124:125], v[114:115], s[30:31]
	v_fma_f64 v[132:133], v[72:73], s[24:25], -v[128:129]
	v_add_f64 v[136:137], v[136:137], v[148:149]
	v_add_f64 v[16:17], v[134:135], v[16:17]
	v_mul_f64 v[134:135], v[84:85], s[34:35]
	v_fma_f64 v[148:149], s[16:17], v[68:69], v[146:147]
	v_fma_f64 v[146:147], v[68:69], s[16:17], -v[146:147]
	v_add_f64 v[14:15], v[12:13], v[14:15]
	v_fma_f64 v[12:13], v[70:71], s[12:13], -v[124:125]
	v_add_f64 v[132:133], v[132:133], v[136:137]
	v_fmac_f64_e32 v[128:129], s[24:25], v[72:73]
	v_mul_f64 v[130:131], v[82:83], s[30:31]
	v_fma_f64 v[136:137], s[24:25], v[66:67], v[134:135]
	v_fma_f64 v[134:135], v[66:67], s[24:25], -v[134:135]
	v_add_f64 v[146:147], v[6:7], v[146:147]
	v_add_f64 v[12:13], v[12:13], v[132:133]
	v_fmac_f64_e32 v[124:125], s[12:13], v[70:71]
	v_add_f64 v[16:17], v[128:129], v[16:17]
	v_mul_f64 v[128:129], v[80:81], s[8:9]
	v_fma_f64 v[132:133], s[12:13], v[64:65], v[130:131]
	v_fma_f64 v[130:131], v[64:65], s[12:13], -v[130:131]
	v_add_f64 v[134:135], v[134:135], v[146:147]
	v_add_f64 v[16:17], v[124:125], v[16:17]
	v_mul_f64 v[126:127], v[78:79], s[22:23]
	v_fma_f64 v[124:125], s[6:7], v[42:43], v[128:129]
	v_mul_f64 v[158:159], v[144:145], s[18:19]
	v_fma_f64 v[128:129], v[42:43], s[6:7], -v[128:129]
	v_add_f64 v[130:131], v[130:131], v[134:135]
	v_fma_f64 v[122:123], s[20:21], v[40:41], v[126:127]
	v_add_f64 v[148:149], v[6:7], v[148:149]
	v_mul_f64 v[154:155], v[120:121], s[34:35]
	v_fma_f64 v[160:161], v[112:113], s[16:17], -v[158:159]
	v_fma_f64 v[126:127], v[40:41], s[20:21], -v[126:127]
	v_add_f64 v[128:129], v[128:129], v[130:131]
	v_fmac_f64_e32 v[158:159], s[16:17], v[112:113]
	v_add_f64 v[136:137], v[136:137], v[148:149]
	v_mul_f64 v[150:151], v[118:119], s[30:31]
	v_fma_f64 v[156:157], v[76:77], s[24:25], -v[154:155]
	v_add_f64 v[160:161], v[4:5], v[160:161]
	v_add_f64 v[128:129], v[126:127], v[128:129]
	v_fmac_f64_e32 v[154:155], s[24:25], v[76:77]
	v_add_f64 v[126:127], v[4:5], v[158:159]
	v_add_f64 v[132:133], v[132:133], v[136:137]
	v_mul_f64 v[136:137], v[116:117], s[8:9]
	v_fma_f64 v[152:153], v[74:75], s[12:13], -v[150:151]
	v_add_f64 v[156:157], v[156:157], v[160:161]
	v_fmac_f64_e32 v[150:151], s[12:13], v[74:75]
	v_add_f64 v[126:127], v[154:155], v[126:127]
	v_mul_f64 v[154:155], v[86:87], s[10:11]
	v_add_f64 v[124:125], v[124:125], v[132:133]
	v_mul_f64 v[132:133], v[114:115], s[22:23]
	v_fma_f64 v[148:149], v[72:73], s[6:7], -v[136:137]
	v_add_f64 v[152:153], v[152:153], v[156:157]
	v_add_f64 v[126:127], v[150:151], v[126:127]
	v_mul_f64 v[150:151], v[84:85], s[22:23]
	v_fma_f64 v[156:157], s[12:13], v[68:69], v[154:155]
	v_fma_f64 v[154:155], v[68:69], s[12:13], -v[154:155]
	v_add_f64 v[124:125], v[122:123], v[124:125]
	v_fma_f64 v[122:123], v[70:71], s[20:21], -v[132:133]
	v_add_f64 v[148:149], v[148:149], v[152:153]
	v_fmac_f64_e32 v[136:137], s[6:7], v[72:73]
	v_mul_f64 v[146:147], v[82:83], s[34:35]
	v_fma_f64 v[152:153], s[20:21], v[66:67], v[150:151]
	v_fma_f64 v[150:151], v[66:67], s[20:21], -v[150:151]
	v_add_f64 v[154:155], v[6:7], v[154:155]
	v_add_f64 v[122:123], v[122:123], v[148:149]
	v_fmac_f64_e32 v[132:133], s[20:21], v[70:71]
	v_add_f64 v[126:127], v[136:137], v[126:127]
	v_mul_f64 v[136:137], v[80:81], s[28:29]
	v_fma_f64 v[148:149], s[24:25], v[64:65], v[146:147]
	v_fma_f64 v[146:147], v[64:65], s[24:25], -v[146:147]
	v_add_f64 v[150:151], v[150:151], v[154:155]
	v_add_f64 v[126:127], v[132:133], v[126:127]
	v_mul_f64 v[134:135], v[78:79], s[14:15]
	v_fma_f64 v[132:133], s[16:17], v[42:43], v[136:137]
	v_mul_f64 v[166:167], v[144:145], s[10:11]
	v_fma_f64 v[136:137], v[42:43], s[16:17], -v[136:137]
	v_add_f64 v[146:147], v[146:147], v[150:151]
	v_fma_f64 v[130:131], s[6:7], v[40:41], v[134:135]
	v_add_f64 v[156:157], v[6:7], v[156:157]
	v_mul_f64 v[162:163], v[120:121], s[22:23]
	v_fma_f64 v[168:169], v[112:113], s[12:13], -v[166:167]
	v_fma_f64 v[134:135], v[40:41], s[6:7], -v[134:135]
	v_add_f64 v[136:137], v[136:137], v[146:147]
	v_fmac_f64_e32 v[166:167], s[12:13], v[112:113]
	v_add_f64 v[152:153], v[152:153], v[156:157]
	v_mul_f64 v[158:159], v[118:119], s[34:35]
	v_fma_f64 v[164:165], v[76:77], s[20:21], -v[162:163]
	v_add_f64 v[136:137], v[134:135], v[136:137]
	v_fmac_f64_e32 v[162:163], s[20:21], v[76:77]
	v_add_f64 v[134:135], v[4:5], v[166:167]
	v_add_f64 v[148:149], v[148:149], v[152:153]
	v_mul_f64 v[152:153], v[116:117], s[28:29]
	v_fma_f64 v[160:161], v[74:75], s[24:25], -v[158:159]
	v_fmac_f64_e32 v[158:159], s[24:25], v[74:75]
	v_add_f64 v[134:135], v[162:163], v[134:135]
	v_mul_f64 v[86:87], v[86:87], s[8:9]
	v_add_f64 v[132:133], v[132:133], v[148:149]
	v_mul_f64 v[148:149], v[114:115], s[14:15]
	v_fma_f64 v[156:157], v[72:73], s[16:17], -v[152:153]
	v_add_f64 v[168:169], v[4:5], v[168:169]
	v_fmac_f64_e32 v[152:153], s[16:17], v[72:73]
	v_add_f64 v[134:135], v[158:159], v[134:135]
	v_mul_f64 v[84:85], v[84:85], s[10:11]
	v_fma_f64 v[154:155], s[6:7], v[68:69], v[86:87]
	v_fma_f64 v[68:69], v[68:69], s[6:7], -v[86:87]
	v_add_f64 v[132:133], v[130:131], v[132:133]
	v_fma_f64 v[130:131], v[70:71], s[6:7], -v[148:149]
	v_add_f64 v[164:165], v[164:165], v[168:169]
	v_fmac_f64_e32 v[148:149], s[6:7], v[70:71]
	v_add_f64 v[134:135], v[152:153], v[134:135]
	v_mul_f64 v[82:83], v[82:83], s[18:19]
	v_fma_f64 v[152:153], s[12:13], v[66:67], v[84:85]
	v_fma_f64 v[66:67], v[66:67], s[12:13], -v[84:85]
	v_add_f64 v[68:69], v[6:7], v[68:69]
	v_add_f64 v[160:161], v[160:161], v[164:165]
	;; [unrolled: 1-line block ×3, first 2 shown]
	v_mul_f64 v[148:149], v[80:81], s[22:23]
	v_fma_f64 v[150:151], s[16:17], v[64:65], v[82:83]
	v_fma_f64 v[64:65], v[64:65], s[16:17], -v[82:83]
	v_add_f64 v[66:67], v[66:67], v[68:69]
	v_add_f64 v[156:157], v[156:157], v[160:161]
	v_mul_f64 v[146:147], v[78:79], s[26:27]
	v_fma_f64 v[80:81], s[20:21], v[42:43], v[148:149]
	v_mul_f64 v[144:145], v[144:145], s[8:9]
	v_fma_f64 v[42:43], v[42:43], s[20:21], -v[148:149]
	v_add_f64 v[64:65], v[64:65], v[66:67]
	v_add_f64 v[130:131], v[130:131], v[156:157]
	v_fma_f64 v[78:79], s[24:25], v[40:41], v[146:147]
	v_fma_f64 v[156:157], v[112:113], s[6:7], -v[144:145]
	v_fma_f64 v[40:41], v[40:41], s[24:25], -v[146:147]
	v_add_f64 v[42:43], v[42:43], v[64:65]
	v_fmac_f64_e32 v[144:145], s[6:7], v[112:113]
	v_add_f64 v[154:155], v[6:7], v[154:155]
	v_add_f64 v[156:157], v[4:5], v[156:157]
	;; [unrolled: 1-line block ×14, first 2 shown]
	v_mul_f64 v[120:121], v[120:121], s[10:11]
	v_add_f64 v[6:7], v[6:7], v[26:27]
	v_add_f64 v[4:5], v[4:5], v[46:47]
	;; [unrolled: 1-line block ×3, first 2 shown]
	v_mul_f64 v[118:119], v[118:119], s[18:19]
	v_fma_f64 v[154:155], v[76:77], s[12:13], -v[120:121]
	v_fmac_f64_e32 v[120:121], s[12:13], v[76:77]
	v_add_f64 v[6:7], v[6:7], v[20:21]
	v_add_f64 v[4:5], v[4:5], v[50:51]
	;; [unrolled: 1-line block ×3, first 2 shown]
	v_mul_f64 v[116:117], v[116:117], s[22:23]
	v_fma_f64 v[152:153], v[74:75], s[16:17], -v[118:119]
	v_add_f64 v[154:155], v[154:155], v[156:157]
	v_fmac_f64_e32 v[118:119], s[16:17], v[74:75]
	v_add_f64 v[40:41], v[120:121], v[40:41]
	v_add_f64 v[6:7], v[6:7], v[28:29]
	;; [unrolled: 1-line block ×4, first 2 shown]
	v_mul_f64 v[114:115], v[114:115], s[26:27]
	v_fma_f64 v[150:151], v[72:73], s[20:21], -v[116:117]
	v_add_f64 v[152:153], v[152:153], v[154:155]
	v_fmac_f64_e32 v[116:117], s[20:21], v[72:73]
	v_add_f64 v[40:41], v[118:119], v[40:41]
	v_add_f64 v[6:7], v[6:7], v[30:31]
	;; [unrolled: 1-line block ×4, first 2 shown]
	v_fma_f64 v[78:79], v[70:71], s[24:25], -v[114:115]
	v_add_f64 v[150:151], v[150:151], v[152:153]
	v_fmac_f64_e32 v[114:115], s[24:25], v[70:71]
	v_add_f64 v[40:41], v[116:117], v[40:41]
	v_add_f64 v[6:7], v[6:7], v[34:35]
	;; [unrolled: 1-line block ×5, first 2 shown]
	ds_write_b128 v138, v[4:7] offset:704
	ds_write_b128 v138, v[40:43] offset:2048
	;; [unrolled: 1-line block ×11, first 2 shown]
.LBB0_23:
	s_or_b64 exec, exec, s[36:37]
	s_waitcnt lgkmcnt(0)
	; wave barrier
	s_waitcnt lgkmcnt(0)
	ds_read_b128 v[4:7], v138
	s_add_u32 s4, s4, 0x39a0
	s_addc_u32 s5, s5, 0
	v_sub_u32_e32 v16, 0, v89
	v_cmp_ne_u32_e64 s[2:3], 0, v88
                                        ; implicit-def: $vgpr2_vgpr3
                                        ; implicit-def: $vgpr8_vgpr9
	s_and_saveexec_b64 s[6:7], s[2:3]
	s_xor_b64 s[2:3], exec, s[6:7]
	s_cbranch_execz .LBB0_25
; %bb.24:
	v_mov_b32_e32 v89, 0
	v_lshl_add_u64 v[0:1], v[88:89], 4, s[4:5]
	global_load_dwordx4 v[10:13], v[0:1], off
	ds_read_b128 v[0:3], v16 offset:14784
	s_waitcnt lgkmcnt(0)
	v_add_f64 v[14:15], v[4:5], v[0:1]
	v_add_f64 v[0:1], v[4:5], -v[0:1]
	v_add_f64 v[8:9], v[6:7], v[2:3]
	v_add_f64 v[2:3], v[6:7], -v[2:3]
	v_mul_f64 v[6:7], v[0:1], 0.5
	v_mul_f64 v[0:1], v[2:3], 0.5
	;; [unrolled: 1-line block ×3, first 2 shown]
	s_waitcnt vmcnt(0)
	v_mul_f64 v[2:3], v[6:7], v[12:13]
	v_fma_f64 v[18:19], 0.5, v[14:15], v[2:3]
	v_fma_f64 v[8:9], v[4:5], v[12:13], v[0:1]
	v_fma_f64 v[12:13], v[4:5], v[12:13], -v[0:1]
	v_fma_f64 v[0:1], v[14:15], 0.5, -v[2:3]
	v_fmac_f64_e32 v[18:19], v[4:5], v[10:11]
	v_fma_f64 v[8:9], -v[10:11], v[6:7], v[8:9]
	v_fma_f64 v[0:1], -v[4:5], v[10:11], v[0:1]
	ds_write_b64 v138, v[18:19]
	v_fma_f64 v[2:3], -v[10:11], v[6:7], v[12:13]
                                        ; implicit-def: $vgpr4_vgpr5
.LBB0_25:
	s_or_saveexec_b64 s[2:3], s[2:3]
	v_sub_u32_e32 v17, 0, v93
	s_xor_b64 exec, exec, s[2:3]
	s_cbranch_execz .LBB0_27
; %bb.26:
	v_mov_b32_e32 v12, 0
	ds_read_b64 v[2:3], v12 offset:7400
	v_mov_b64_e32 v[8:9], 0
	s_waitcnt lgkmcnt(1)
	v_add_f64 v[10:11], v[4:5], v[6:7]
	v_add_f64 v[0:1], v[4:5], -v[6:7]
	ds_write_b64 v138, v[10:11]
	s_waitcnt lgkmcnt(1)
	v_xor_b32_e32 v3, 0x80000000, v3
	ds_write_b64 v12, v[2:3] offset:7400
	v_mov_b64_e32 v[2:3], v[8:9]
.LBB0_27:
	s_or_b64 exec, exec, s[2:3]
	v_mov_b32_e32 v93, 0
	s_waitcnt lgkmcnt(0)
	v_lshl_add_u64 v[4:5], v[92:93], 4, s[4:5]
	global_load_dwordx4 v[4:7], v[4:5], off
	v_mov_b32_e32 v111, v93
	v_lshl_add_u64 v[10:11], v[110:111], 4, s[4:5]
	global_load_dwordx4 v[18:21], v[10:11], off
	v_mov_b32_e32 v109, v93
	v_lshl_add_u64 v[10:11], v[108:109], 4, s[4:5]
	global_load_dwordx4 v[12:15], v[10:11], off
	v_mov_b32_e32 v107, v93
	ds_write_b64 v138, v[8:9] offset:8
	ds_write_b128 v16, v[0:3] offset:14784
	v_lshl_add_u64 v[8:9], v[106:107], 4, s[4:5]
	ds_read_b128 v[0:3], v103
	ds_read_b128 v[22:25], v16 offset:14080
	global_load_dwordx4 v[8:11], v[8:9], off
	v_mov_b32_e32 v105, v93
	v_add_u32_e32 v17, v95, v17
	s_waitcnt lgkmcnt(0)
	v_add_f64 v[26:27], v[0:1], v[22:23]
	v_add_f64 v[0:1], v[0:1], -v[22:23]
	v_add_f64 v[28:29], v[2:3], v[24:25]
	v_add_f64 v[2:3], v[2:3], -v[24:25]
	v_mul_f64 v[24:25], v[0:1], 0.5
	v_mul_f64 v[22:23], v[28:29], 0.5
	;; [unrolled: 1-line block ×3, first 2 shown]
	s_waitcnt vmcnt(3)
	v_mul_f64 v[28:29], v[24:25], v[6:7]
	v_fma_f64 v[2:3], v[22:23], v[6:7], v[0:1]
	v_fma_f64 v[6:7], v[22:23], v[6:7], -v[0:1]
	v_fma_f64 v[0:1], 0.5, v[26:27], v[28:29]
	v_fma_f64 v[26:27], v[26:27], 0.5, -v[28:29]
	v_fma_f64 v[2:3], -v[4:5], v[24:25], v[2:3]
	v_fma_f64 v[6:7], -v[4:5], v[24:25], v[6:7]
	v_fmac_f64_e32 v[0:1], v[22:23], v[4:5]
	v_fma_f64 v[4:5], -v[22:23], v[4:5], v[26:27]
	ds_write_b128 v103, v[0:3]
	ds_write_b128 v16, v[4:7] offset:14080
	v_lshl_add_u64 v[4:5], v[104:105], 4, s[4:5]
	ds_read_b128 v[0:3], v101
	ds_read_b128 v[22:25], v16 offset:13376
	global_load_dwordx4 v[4:7], v[4:5], off
	v_mov_b32_e32 v103, v93
	s_waitcnt lgkmcnt(0)
	v_add_f64 v[26:27], v[0:1], v[22:23]
	v_add_f64 v[0:1], v[0:1], -v[22:23]
	v_add_f64 v[28:29], v[2:3], v[24:25]
	v_add_f64 v[2:3], v[2:3], -v[24:25]
	v_mul_f64 v[24:25], v[0:1], 0.5
	v_mul_f64 v[22:23], v[28:29], 0.5
	;; [unrolled: 1-line block ×3, first 2 shown]
	s_waitcnt vmcnt(3)
	v_mul_f64 v[28:29], v[24:25], v[20:21]
	v_fma_f64 v[2:3], v[22:23], v[20:21], v[0:1]
	v_fma_f64 v[20:21], v[22:23], v[20:21], -v[0:1]
	v_fma_f64 v[0:1], 0.5, v[26:27], v[28:29]
	v_fma_f64 v[2:3], -v[18:19], v[24:25], v[2:3]
	v_fma_f64 v[26:27], v[26:27], 0.5, -v[28:29]
	v_fmac_f64_e32 v[0:1], v[22:23], v[18:19]
	v_fma_f64 v[20:21], -v[18:19], v[24:25], v[20:21]
	v_fma_f64 v[18:19], -v[22:23], v[18:19], v[26:27]
	ds_write_b128 v101, v[0:3]
	ds_write_b128 v16, v[18:21] offset:13376
	v_lshl_add_u64 v[0:1], v[102:103], 4, s[4:5]
	ds_read_b128 v[18:21], v99
	ds_read_b128 v[22:25], v16 offset:12672
	global_load_dwordx4 v[0:3], v[0:1], off
	v_mov_b32_e32 v101, v93
	s_waitcnt lgkmcnt(0)
	v_add_f64 v[26:27], v[18:19], v[22:23]
	v_add_f64 v[18:19], v[18:19], -v[22:23]
	v_add_f64 v[28:29], v[20:21], v[24:25]
	v_add_f64 v[20:21], v[20:21], -v[24:25]
	v_mul_f64 v[24:25], v[18:19], 0.5
	v_mul_f64 v[22:23], v[28:29], 0.5
	;; [unrolled: 1-line block ×3, first 2 shown]
	s_waitcnt vmcnt(3)
	v_mul_f64 v[28:29], v[24:25], v[14:15]
	v_fma_f64 v[20:21], v[22:23], v[14:15], v[18:19]
	v_fma_f64 v[14:15], v[22:23], v[14:15], -v[18:19]
	v_fma_f64 v[18:19], 0.5, v[26:27], v[28:29]
	v_fma_f64 v[20:21], -v[12:13], v[24:25], v[20:21]
	v_fma_f64 v[26:27], v[26:27], 0.5, -v[28:29]
	v_fmac_f64_e32 v[18:19], v[22:23], v[12:13]
	v_fma_f64 v[14:15], -v[12:13], v[24:25], v[14:15]
	v_fma_f64 v[12:13], -v[22:23], v[12:13], v[26:27]
	ds_write_b128 v99, v[18:21]
	ds_write_b128 v16, v[12:15] offset:12672
	v_lshl_add_u64 v[22:23], v[100:101], 4, s[4:5]
	ds_read_b128 v[12:15], v97
	ds_read_b128 v[18:21], v16 offset:11968
	global_load_dwordx4 v[22:25], v[22:23], off
	v_mov_b32_e32 v99, v93
	s_waitcnt lgkmcnt(0)
	v_add_f64 v[26:27], v[12:13], v[18:19]
	v_add_f64 v[12:13], v[12:13], -v[18:19]
	v_add_f64 v[28:29], v[14:15], v[20:21]
	v_add_f64 v[14:15], v[14:15], -v[20:21]
	v_mul_f64 v[20:21], v[12:13], 0.5
	v_mul_f64 v[18:19], v[28:29], 0.5
	;; [unrolled: 1-line block ×3, first 2 shown]
	s_waitcnt vmcnt(3)
	v_mul_f64 v[14:15], v[20:21], v[10:11]
	v_fma_f64 v[28:29], v[18:19], v[10:11], v[12:13]
	v_fma_f64 v[30:31], v[18:19], v[10:11], -v[12:13]
	v_fma_f64 v[10:11], 0.5, v[26:27], v[14:15]
	v_fma_f64 v[14:15], v[26:27], 0.5, -v[14:15]
	v_fma_f64 v[12:13], -v[8:9], v[20:21], v[28:29]
	v_fmac_f64_e32 v[10:11], v[18:19], v[8:9]
	v_fma_f64 v[18:19], -v[18:19], v[8:9], v[14:15]
	v_fma_f64 v[20:21], -v[8:9], v[20:21], v[30:31]
	ds_write_b128 v97, v[10:13]
	ds_write_b128 v16, v[18:21] offset:11968
	v_lshl_add_u64 v[18:19], v[98:99], 4, s[4:5]
	ds_read_b128 v[8:11], v142
	ds_read_b128 v[12:15], v16 offset:11264
	global_load_dwordx4 v[18:21], v[18:19], off
	v_mov_b32_e32 v97, v93
	s_waitcnt lgkmcnt(0)
	v_add_f64 v[26:27], v[8:9], v[12:13]
	v_add_f64 v[8:9], v[8:9], -v[12:13]
	v_add_f64 v[28:29], v[10:11], v[14:15]
	v_add_f64 v[10:11], v[10:11], -v[14:15]
	v_mul_f64 v[12:13], v[8:9], 0.5
	v_mul_f64 v[14:15], v[28:29], 0.5
	;; [unrolled: 1-line block ×3, first 2 shown]
	s_waitcnt vmcnt(3)
	v_mul_f64 v[10:11], v[12:13], v[6:7]
	v_fma_f64 v[28:29], v[14:15], v[6:7], v[8:9]
	v_fma_f64 v[30:31], v[14:15], v[6:7], -v[8:9]
	v_fma_f64 v[6:7], 0.5, v[26:27], v[10:11]
	v_fma_f64 v[8:9], -v[4:5], v[12:13], v[28:29]
	v_fma_f64 v[10:11], v[26:27], 0.5, -v[10:11]
	v_fma_f64 v[12:13], -v[4:5], v[12:13], v[30:31]
	v_fmac_f64_e32 v[6:7], v[14:15], v[4:5]
	v_fma_f64 v[10:11], -v[14:15], v[4:5], v[10:11]
	ds_write_b128 v142, v[6:9]
	ds_write_b128 v16, v[10:13] offset:11264
	v_lshl_add_u64 v[12:13], v[96:97], 4, s[4:5]
	ds_read_b128 v[4:7], v141
	ds_read_b128 v[8:11], v16 offset:10560
	global_load_dwordx4 v[12:15], v[12:13], off
	s_waitcnt lgkmcnt(0)
	v_add_f64 v[26:27], v[4:5], v[8:9]
	v_add_f64 v[4:5], v[4:5], -v[8:9]
	v_add_f64 v[28:29], v[6:7], v[10:11]
	v_add_f64 v[6:7], v[6:7], -v[10:11]
	v_mul_f64 v[10:11], v[4:5], 0.5
	v_mul_f64 v[8:9], v[28:29], 0.5
	v_mul_f64 v[28:29], v[6:7], 0.5
	s_waitcnt vmcnt(3)
	v_mul_f64 v[30:31], v[10:11], v[2:3]
	v_fma_f64 v[4:5], 0.5, v[26:27], v[30:31]
	v_fma_f64 v[6:7], v[8:9], v[2:3], v[28:29]
	v_fmac_f64_e32 v[4:5], v[8:9], v[0:1]
	v_fma_f64 v[6:7], -v[0:1], v[10:11], v[6:7]
	ds_write_b128 v141, v[4:7]
	v_fma_f64 v[4:5], v[26:27], 0.5, -v[30:31]
	v_fma_f64 v[2:3], v[8:9], v[2:3], -v[28:29]
	v_fma_f64 v[4:5], -v[8:9], v[0:1], v[4:5]
	v_fma_f64 v[6:7], -v[0:1], v[10:11], v[2:3]
	ds_write_b128 v16, v[4:7] offset:10560
	ds_read_b128 v[0:3], v140
	ds_read_b128 v[4:7], v16 offset:9856
	s_waitcnt lgkmcnt(0)
	v_add_f64 v[8:9], v[0:1], v[4:5]
	v_add_f64 v[0:1], v[0:1], -v[4:5]
	v_add_f64 v[10:11], v[2:3], v[6:7]
	v_add_f64 v[2:3], v[2:3], -v[6:7]
	v_mul_f64 v[4:5], v[0:1], 0.5
	v_mul_f64 v[10:11], v[10:11], 0.5
	v_mul_f64 v[6:7], v[2:3], 0.5
	s_waitcnt vmcnt(2)
	v_mul_f64 v[26:27], v[4:5], v[24:25]
	v_fma_f64 v[0:1], 0.5, v[8:9], v[26:27]
	v_fma_f64 v[2:3], v[10:11], v[24:25], v[6:7]
	v_fmac_f64_e32 v[0:1], v[10:11], v[22:23]
	v_fma_f64 v[2:3], -v[22:23], v[4:5], v[2:3]
	ds_write_b128 v140, v[0:3]
	v_fma_f64 v[0:1], v[8:9], 0.5, -v[26:27]
	v_fma_f64 v[2:3], v[10:11], v[24:25], -v[6:7]
	v_fma_f64 v[0:1], -v[10:11], v[22:23], v[0:1]
	v_fma_f64 v[2:3], -v[22:23], v[4:5], v[2:3]
	ds_write_b128 v16, v[0:3] offset:9856
	ds_read_b128 v[0:3], v17
	ds_read_b128 v[4:7], v16 offset:9152
	;; [unrolled: 22-line block ×3, first 2 shown]
	s_waitcnt lgkmcnt(0)
	v_add_f64 v[8:9], v[0:1], v[4:5]
	v_add_f64 v[0:1], v[0:1], -v[4:5]
	v_add_f64 v[10:11], v[2:3], v[6:7]
	v_add_f64 v[2:3], v[2:3], -v[6:7]
	v_mul_f64 v[4:5], v[0:1], 0.5
	v_mul_f64 v[10:11], v[10:11], 0.5
	v_mul_f64 v[6:7], v[2:3], 0.5
	s_waitcnt vmcnt(0)
	v_mul_f64 v[18:19], v[4:5], v[14:15]
	v_fma_f64 v[0:1], 0.5, v[8:9], v[18:19]
	v_fma_f64 v[2:3], v[10:11], v[14:15], v[6:7]
	v_fmac_f64_e32 v[0:1], v[10:11], v[12:13]
	v_fma_f64 v[2:3], -v[12:13], v[4:5], v[2:3]
	ds_write_b128 v143, v[0:3]
	v_fma_f64 v[0:1], v[8:9], 0.5, -v[18:19]
	v_fma_f64 v[2:3], v[10:11], v[14:15], -v[6:7]
	v_fma_f64 v[0:1], -v[10:11], v[12:13], v[0:1]
	v_fma_f64 v[2:3], -v[12:13], v[4:5], v[2:3]
	ds_write_b128 v16, v[0:3] offset:8448
	s_and_saveexec_b64 s[2:3], vcc
	s_cbranch_execz .LBB0_29
; %bb.28:
	v_mov_b32_e32 v95, v93
	v_lshl_add_u64 v[0:1], v[94:95], 4, s[4:5]
	global_load_dwordx4 v[0:3], v[0:1], off
	ds_read_b128 v[4:7], v139
	ds_read_b128 v[8:11], v16 offset:7744
	s_waitcnt lgkmcnt(0)
	v_add_f64 v[12:13], v[4:5], v[8:9]
	v_add_f64 v[4:5], v[4:5], -v[8:9]
	v_add_f64 v[14:15], v[6:7], v[10:11]
	v_add_f64 v[6:7], v[6:7], -v[10:11]
	v_mul_f64 v[8:9], v[4:5], 0.5
	v_mul_f64 v[10:11], v[14:15], 0.5
	;; [unrolled: 1-line block ×3, first 2 shown]
	s_waitcnt vmcnt(0)
	v_mul_f64 v[6:7], v[8:9], v[2:3]
	v_fma_f64 v[14:15], v[10:11], v[2:3], v[4:5]
	v_fma_f64 v[18:19], v[10:11], v[2:3], -v[4:5]
	v_fma_f64 v[2:3], 0.5, v[12:13], v[6:7]
	v_fma_f64 v[4:5], -v[0:1], v[8:9], v[14:15]
	v_fma_f64 v[6:7], v[12:13], 0.5, -v[6:7]
	v_fmac_f64_e32 v[2:3], v[10:11], v[0:1]
	v_fma_f64 v[8:9], -v[0:1], v[8:9], v[18:19]
	v_fma_f64 v[6:7], -v[10:11], v[0:1], v[6:7]
	ds_write_b128 v139, v[2:5]
	ds_write_b128 v16, v[6:9] offset:7744
.LBB0_29:
	s_or_b64 exec, exec, s[2:3]
	s_waitcnt lgkmcnt(0)
	; wave barrier
	s_waitcnt lgkmcnt(0)
	s_and_saveexec_b64 s[2:3], s[0:1]
	s_cbranch_execz .LBB0_32
; %bb.30:
	ds_read_b128 v[0:3], v138
	ds_read_b128 v[4:7], v138 offset:704
	v_mov_b32_e32 v89, 0
	v_lshl_add_u64 v[20:21], v[88:89], 4, v[90:91]
	s_movk_i32 s0, 0x1000
	s_waitcnt lgkmcnt(1)
	global_store_dwordx4 v[20:21], v[0:3], off
	ds_read_b128 v[0:3], v138 offset:1408
	ds_read_b128 v[8:11], v138 offset:2112
	;; [unrolled: 1-line block ×4, first 2 shown]
	v_add_co_u32_e32 v22, vcc, s0, v20
	s_movk_i32 s0, 0x2000
	s_nop 0
	v_addc_co_u32_e32 v23, vcc, 0, v21, vcc
	s_waitcnt lgkmcnt(4)
	global_store_dwordx4 v[20:21], v[4:7], off offset:704
	s_waitcnt lgkmcnt(3)
	global_store_dwordx4 v[20:21], v[0:3], off offset:1408
	;; [unrolled: 2-line block ×5, first 2 shown]
	ds_read_b128 v[0:3], v138 offset:4224
	ds_read_b128 v[4:7], v138 offset:4928
	s_waitcnt lgkmcnt(1)
	global_store_dwordx4 v[22:23], v[0:3], off offset:128
	ds_read_b128 v[0:3], v138 offset:5632
	ds_read_b128 v[8:11], v138 offset:6336
	;; [unrolled: 1-line block ×4, first 2 shown]
	s_waitcnt lgkmcnt(4)
	global_store_dwordx4 v[22:23], v[4:7], off offset:832
	s_waitcnt lgkmcnt(3)
	global_store_dwordx4 v[22:23], v[0:3], off offset:1536
	;; [unrolled: 2-line block ×5, first 2 shown]
	ds_read_b128 v[0:3], v138 offset:8448
	ds_read_b128 v[4:7], v138 offset:9152
	;; [unrolled: 1-line block ×4, first 2 shown]
	v_add_co_u32_e32 v16, vcc, s0, v20
	s_nop 1
	v_addc_co_u32_e32 v17, vcc, 0, v21, vcc
	s_waitcnt lgkmcnt(3)
	global_store_dwordx4 v[16:17], v[0:3], off offset:256
	s_waitcnt lgkmcnt(2)
	global_store_dwordx4 v[16:17], v[4:7], off offset:960
	;; [unrolled: 2-line block ×4, first 2 shown]
	ds_read_b128 v[0:3], v138 offset:11264
	ds_read_b128 v[4:7], v138 offset:11968
	v_or_b32_e32 v8, 0x2c0, v88
	v_mov_b32_e32 v9, v89
	v_lshl_add_u64 v[8:9], v[8:9], 4, v[90:91]
	s_waitcnt lgkmcnt(1)
	global_store_dwordx4 v[8:9], v[0:3], off
	s_waitcnt lgkmcnt(0)
	global_store_dwordx4 v[16:17], v[4:7], off offset:3776
	ds_read_b128 v[0:3], v138 offset:12672
	ds_read_b128 v[4:7], v138 offset:13376
	;; [unrolled: 1-line block ×3, first 2 shown]
	v_add_co_u32_e32 v12, vcc, 0x3000, v20
	s_nop 1
	v_addc_co_u32_e32 v13, vcc, 0, v21, vcc
	v_cmp_eq_u32_e32 vcc, 43, v88
	s_waitcnt lgkmcnt(2)
	global_store_dwordx4 v[12:13], v[0:3], off offset:384
	s_waitcnt lgkmcnt(1)
	global_store_dwordx4 v[12:13], v[4:7], off offset:1088
	;; [unrolled: 2-line block ×3, first 2 shown]
	s_and_b64 exec, exec, vcc
	s_cbranch_execz .LBB0_32
; %bb.31:
	ds_read_b128 v[0:3], v89 offset:14784
	v_add_co_u32_e32 v4, vcc, 0x3000, v90
	s_nop 1
	v_addc_co_u32_e32 v5, vcc, 0, v91, vcc
	s_waitcnt lgkmcnt(0)
	global_store_dwordx4 v[4:5], v[0:3], off offset:2496
.LBB0_32:
	s_endpgm
	.section	.rodata,"a",@progbits
	.p2align	6, 0x0
	.amdhsa_kernel fft_rtc_back_len924_factors_2_2_3_7_11_wgs_44_tpt_44_halfLds_dp_ip_CI_unitstride_sbrr_R2C_dirReg
		.amdhsa_group_segment_fixed_size 0
		.amdhsa_private_segment_fixed_size 0
		.amdhsa_kernarg_size 88
		.amdhsa_user_sgpr_count 2
		.amdhsa_user_sgpr_dispatch_ptr 0
		.amdhsa_user_sgpr_queue_ptr 0
		.amdhsa_user_sgpr_kernarg_segment_ptr 1
		.amdhsa_user_sgpr_dispatch_id 0
		.amdhsa_user_sgpr_kernarg_preload_length 0
		.amdhsa_user_sgpr_kernarg_preload_offset 0
		.amdhsa_user_sgpr_private_segment_size 0
		.amdhsa_uses_dynamic_stack 0
		.amdhsa_enable_private_segment 0
		.amdhsa_system_sgpr_workgroup_id_x 1
		.amdhsa_system_sgpr_workgroup_id_y 0
		.amdhsa_system_sgpr_workgroup_id_z 0
		.amdhsa_system_sgpr_workgroup_info 0
		.amdhsa_system_vgpr_workitem_id 0
		.amdhsa_next_free_vgpr 170
		.amdhsa_next_free_sgpr 38
		.amdhsa_accum_offset 172
		.amdhsa_reserve_vcc 1
		.amdhsa_float_round_mode_32 0
		.amdhsa_float_round_mode_16_64 0
		.amdhsa_float_denorm_mode_32 3
		.amdhsa_float_denorm_mode_16_64 3
		.amdhsa_dx10_clamp 1
		.amdhsa_ieee_mode 1
		.amdhsa_fp16_overflow 0
		.amdhsa_tg_split 0
		.amdhsa_exception_fp_ieee_invalid_op 0
		.amdhsa_exception_fp_denorm_src 0
		.amdhsa_exception_fp_ieee_div_zero 0
		.amdhsa_exception_fp_ieee_overflow 0
		.amdhsa_exception_fp_ieee_underflow 0
		.amdhsa_exception_fp_ieee_inexact 0
		.amdhsa_exception_int_div_zero 0
	.end_amdhsa_kernel
	.text
.Lfunc_end0:
	.size	fft_rtc_back_len924_factors_2_2_3_7_11_wgs_44_tpt_44_halfLds_dp_ip_CI_unitstride_sbrr_R2C_dirReg, .Lfunc_end0-fft_rtc_back_len924_factors_2_2_3_7_11_wgs_44_tpt_44_halfLds_dp_ip_CI_unitstride_sbrr_R2C_dirReg
                                        ; -- End function
	.section	.AMDGPU.csdata,"",@progbits
; Kernel info:
; codeLenInByte = 17592
; NumSgprs: 44
; NumVgprs: 170
; NumAgprs: 0
; TotalNumVgprs: 170
; ScratchSize: 0
; MemoryBound: 0
; FloatMode: 240
; IeeeMode: 1
; LDSByteSize: 0 bytes/workgroup (compile time only)
; SGPRBlocks: 5
; VGPRBlocks: 21
; NumSGPRsForWavesPerEU: 44
; NumVGPRsForWavesPerEU: 170
; AccumOffset: 172
; Occupancy: 2
; WaveLimiterHint : 1
; COMPUTE_PGM_RSRC2:SCRATCH_EN: 0
; COMPUTE_PGM_RSRC2:USER_SGPR: 2
; COMPUTE_PGM_RSRC2:TRAP_HANDLER: 0
; COMPUTE_PGM_RSRC2:TGID_X_EN: 1
; COMPUTE_PGM_RSRC2:TGID_Y_EN: 0
; COMPUTE_PGM_RSRC2:TGID_Z_EN: 0
; COMPUTE_PGM_RSRC2:TIDIG_COMP_CNT: 0
; COMPUTE_PGM_RSRC3_GFX90A:ACCUM_OFFSET: 42
; COMPUTE_PGM_RSRC3_GFX90A:TG_SPLIT: 0
	.text
	.p2alignl 6, 3212836864
	.fill 256, 4, 3212836864
	.type	__hip_cuid_2670e1ce281857be,@object ; @__hip_cuid_2670e1ce281857be
	.section	.bss,"aw",@nobits
	.globl	__hip_cuid_2670e1ce281857be
__hip_cuid_2670e1ce281857be:
	.byte	0                               ; 0x0
	.size	__hip_cuid_2670e1ce281857be, 1

	.ident	"AMD clang version 19.0.0git (https://github.com/RadeonOpenCompute/llvm-project roc-6.4.0 25133 c7fe45cf4b819c5991fe208aaa96edf142730f1d)"
	.section	".note.GNU-stack","",@progbits
	.addrsig
	.addrsig_sym __hip_cuid_2670e1ce281857be
	.amdgpu_metadata
---
amdhsa.kernels:
  - .agpr_count:     0
    .args:
      - .actual_access:  read_only
        .address_space:  global
        .offset:         0
        .size:           8
        .value_kind:     global_buffer
      - .offset:         8
        .size:           8
        .value_kind:     by_value
      - .actual_access:  read_only
        .address_space:  global
        .offset:         16
        .size:           8
        .value_kind:     global_buffer
      - .actual_access:  read_only
        .address_space:  global
        .offset:         24
        .size:           8
        .value_kind:     global_buffer
      - .offset:         32
        .size:           8
        .value_kind:     by_value
      - .actual_access:  read_only
        .address_space:  global
        .offset:         40
        .size:           8
        .value_kind:     global_buffer
      - .actual_access:  read_only
        .address_space:  global
        .offset:         48
        .size:           8
        .value_kind:     global_buffer
      - .offset:         56
        .size:           4
        .value_kind:     by_value
      - .actual_access:  read_only
        .address_space:  global
        .offset:         64
        .size:           8
        .value_kind:     global_buffer
      - .actual_access:  read_only
        .address_space:  global
        .offset:         72
        .size:           8
        .value_kind:     global_buffer
      - .address_space:  global
        .offset:         80
        .size:           8
        .value_kind:     global_buffer
    .group_segment_fixed_size: 0
    .kernarg_segment_align: 8
    .kernarg_segment_size: 88
    .language:       OpenCL C
    .language_version:
      - 2
      - 0
    .max_flat_workgroup_size: 44
    .name:           fft_rtc_back_len924_factors_2_2_3_7_11_wgs_44_tpt_44_halfLds_dp_ip_CI_unitstride_sbrr_R2C_dirReg
    .private_segment_fixed_size: 0
    .sgpr_count:     44
    .sgpr_spill_count: 0
    .symbol:         fft_rtc_back_len924_factors_2_2_3_7_11_wgs_44_tpt_44_halfLds_dp_ip_CI_unitstride_sbrr_R2C_dirReg.kd
    .uniform_work_group_size: 1
    .uses_dynamic_stack: false
    .vgpr_count:     170
    .vgpr_spill_count: 0
    .wavefront_size: 64
amdhsa.target:   amdgcn-amd-amdhsa--gfx950
amdhsa.version:
  - 1
  - 2
...

	.end_amdgpu_metadata
